;; amdgpu-corpus repo=ROCm/rocFFT kind=compiled arch=gfx906 opt=O3
	.text
	.amdgcn_target "amdgcn-amd-amdhsa--gfx906"
	.amdhsa_code_object_version 6
	.protected	bluestein_single_back_len539_dim1_dp_op_CI_CI ; -- Begin function bluestein_single_back_len539_dim1_dp_op_CI_CI
	.globl	bluestein_single_back_len539_dim1_dp_op_CI_CI
	.p2align	8
	.type	bluestein_single_back_len539_dim1_dp_op_CI_CI,@function
bluestein_single_back_len539_dim1_dp_op_CI_CI: ; @bluestein_single_back_len539_dim1_dp_op_CI_CI
; %bb.0:
	v_mul_u32_u24_e32 v1, 0x354, v0
	s_load_dwordx4 s[0:3], s[4:5], 0x28
	v_lshrrev_b32_e32 v1, 16, v1
	v_mad_u64_u32 v[96:97], s[6:7], s6, 3, v[1:2]
	v_mov_b32_e32 v97, 0
	s_waitcnt lgkmcnt(0)
	v_cmp_gt_u64_e32 vcc, s[0:1], v[96:97]
	s_and_saveexec_b64 s[0:1], vcc
	s_cbranch_execz .LBB0_15
; %bb.1:
	s_mov_b32 s0, 0xaaaaaaab
	v_mul_hi_u32 v2, v96, s0
	v_mul_lo_u16_e32 v1, 0x4d, v1
	s_load_dwordx2 s[14:15], s[4:5], 0x0
	s_load_dwordx2 s[12:13], s[4:5], 0x38
	v_sub_u16_e32 v181, v0, v1
	v_lshrrev_b32_e32 v0, 1, v2
	v_lshl_add_u32 v0, v0, 1, v0
	v_sub_u32_e32 v0, v96, v0
	v_mul_u32_u24_e32 v185, 0x21b, v0
	v_cmp_gt_u16_e64 s[0:1], 49, v181
	v_lshlrev_b32_e32 v182, 4, v181
	v_lshlrev_b32_e32 v183, 4, v185
	s_and_saveexec_b64 s[6:7], s[0:1]
	s_cbranch_execz .LBB0_3
; %bb.2:
	s_load_dwordx2 s[8:9], s[4:5], 0x18
	s_waitcnt lgkmcnt(0)
	s_load_dwordx4 s[8:11], s[8:9], 0x0
	s_waitcnt lgkmcnt(0)
	v_mad_u64_u32 v[0:1], s[16:17], s10, v96, 0
	v_mad_u64_u32 v[2:3], s[16:17], s8, v181, 0
	;; [unrolled: 1-line block ×4, first 2 shown]
	v_mov_b32_e32 v1, v4
	v_lshlrev_b64 v[0:1], 4, v[0:1]
	v_mov_b32_e32 v3, v5
	v_mov_b32_e32 v6, s3
	v_lshlrev_b64 v[2:3], 4, v[2:3]
	v_add_co_u32_e32 v0, vcc, s2, v0
	v_addc_co_u32_e32 v1, vcc, v6, v1, vcc
	v_add_co_u32_e32 v16, vcc, v0, v2
	v_addc_co_u32_e32 v17, vcc, v1, v3, vcc
	v_mov_b32_e32 v0, s15
	v_add_co_u32_e32 v54, vcc, s14, v182
	s_mul_i32 s2, s9, 0x310
	s_mul_hi_u32 s3, s8, 0x310
	v_addc_co_u32_e32 v55, vcc, 0, v0, vcc
	s_add_i32 s2, s3, s2
	s_mul_i32 s3, s8, 0x310
	v_mov_b32_e32 v0, s2
	v_add_co_u32_e32 v18, vcc, s3, v16
	v_addc_co_u32_e32 v19, vcc, v17, v0, vcc
	global_load_dwordx4 v[0:3], v[16:17], off
	global_load_dwordx4 v[4:7], v[18:19], off
	global_load_dwordx4 v[8:11], v182, s[14:15]
	global_load_dwordx4 v[12:15], v182, s[14:15] offset:784
	v_mov_b32_e32 v16, s2
	v_add_co_u32_e32 v32, vcc, s3, v18
	v_addc_co_u32_e32 v33, vcc, v19, v16, vcc
	v_add_co_u32_e32 v34, vcc, s3, v32
	v_addc_co_u32_e32 v35, vcc, v33, v16, vcc
	global_load_dwordx4 v[16:19], v[32:33], off
	global_load_dwordx4 v[20:23], v[34:35], off
	global_load_dwordx4 v[24:27], v182, s[14:15] offset:1568
	global_load_dwordx4 v[28:31], v182, s[14:15] offset:2352
	v_mov_b32_e32 v32, s2
	v_add_co_u32_e32 v36, vcc, s3, v34
	v_addc_co_u32_e32 v37, vcc, v35, v32, vcc
	v_mov_b32_e32 v38, s2
	v_add_co_u32_e32 v48, vcc, s3, v36
	v_addc_co_u32_e32 v49, vcc, v37, v38, vcc
	;; [unrolled: 3-line block ×3, first 2 shown]
	s_movk_i32 s8, 0x1000
	v_add_co_u32_e32 v88, vcc, s8, v54
	v_addc_co_u32_e32 v89, vcc, 0, v55, vcc
	v_mov_b32_e32 v54, s2
	v_add_co_u32_e32 v64, vcc, s3, v52
	v_addc_co_u32_e32 v65, vcc, v53, v54, vcc
	global_load_dwordx4 v[32:35], v[36:37], off
	v_mov_b32_e32 v66, s2
	v_add_co_u32_e32 v68, vcc, s3, v64
	global_load_dwordx4 v[36:39], v[48:49], off
	global_load_dwordx4 v[40:43], v182, s[14:15] offset:3136
	global_load_dwordx4 v[44:47], v182, s[14:15] offset:3920
	v_addc_co_u32_e32 v69, vcc, v65, v66, vcc
	global_load_dwordx4 v[48:51], v[52:53], off
	v_mov_b32_e32 v70, s2
	v_add_co_u32_e32 v80, vcc, s3, v68
	global_load_dwordx4 v[52:55], v[64:65], off
	global_load_dwordx4 v[56:59], v[88:89], off offset:608
	global_load_dwordx4 v[60:63], v[88:89], off offset:1392
	v_addc_co_u32_e32 v81, vcc, v69, v70, vcc
	global_load_dwordx4 v[64:67], v[68:69], off
	v_mov_b32_e32 v82, s2
	v_add_co_u32_e32 v90, vcc, s3, v80
	global_load_dwordx4 v[68:71], v[80:81], off
	global_load_dwordx4 v[72:75], v[88:89], off offset:2176
	global_load_dwordx4 v[76:79], v[88:89], off offset:2960
	v_addc_co_u32_e32 v91, vcc, v81, v82, vcc
	global_load_dwordx4 v[80:83], v[90:91], off
	global_load_dwordx4 v[84:87], v[88:89], off offset:3744
	s_waitcnt vmcnt(19)
	v_mul_f64 v[88:89], v[2:3], v[10:11]
	v_mul_f64 v[10:11], v[0:1], v[10:11]
	s_waitcnt vmcnt(18)
	v_mul_f64 v[90:91], v[6:7], v[14:15]
	v_mul_f64 v[14:15], v[4:5], v[14:15]
	v_fma_f64 v[0:1], v[0:1], v[8:9], v[88:89]
	v_fma_f64 v[2:3], v[2:3], v[8:9], -v[10:11]
	s_waitcnt vmcnt(15)
	v_mul_f64 v[92:93], v[18:19], v[26:27]
	v_mul_f64 v[26:27], v[16:17], v[26:27]
	v_fma_f64 v[4:5], v[4:5], v[12:13], v[90:91]
	v_fma_f64 v[6:7], v[6:7], v[12:13], -v[14:15]
	v_lshl_add_u32 v12, v181, 4, v183
	v_add_u32_e32 v88, v183, v182
	ds_write_b128 v12, v[0:3]
	v_fma_f64 v[8:9], v[16:17], v[24:25], v[92:93]
	v_fma_f64 v[10:11], v[18:19], v[24:25], -v[26:27]
	s_waitcnt vmcnt(14)
	v_mul_f64 v[0:1], v[22:23], v[30:31]
	v_mul_f64 v[2:3], v[20:21], v[30:31]
	ds_write_b128 v88, v[4:7] offset:784
	ds_write_b128 v88, v[8:11] offset:1568
	v_fma_f64 v[0:1], v[20:21], v[28:29], v[0:1]
	v_fma_f64 v[2:3], v[22:23], v[28:29], -v[2:3]
	s_waitcnt vmcnt(11)
	v_mul_f64 v[4:5], v[34:35], v[42:43]
	v_mul_f64 v[6:7], v[32:33], v[42:43]
	s_waitcnt vmcnt(10)
	v_mul_f64 v[8:9], v[38:39], v[46:47]
	v_mul_f64 v[10:11], v[36:37], v[46:47]
	;; [unrolled: 3-line block ×4, first 2 shown]
	v_fma_f64 v[4:5], v[32:33], v[40:41], v[4:5]
	v_fma_f64 v[6:7], v[34:35], v[40:41], -v[6:7]
	v_fma_f64 v[8:9], v[36:37], v[44:45], v[8:9]
	s_waitcnt vmcnt(3)
	v_mul_f64 v[20:21], v[66:67], v[74:75]
	v_mul_f64 v[22:23], v[64:65], v[74:75]
	s_waitcnt vmcnt(2)
	v_mul_f64 v[24:25], v[70:71], v[78:79]
	v_mul_f64 v[26:27], v[68:69], v[78:79]
	;; [unrolled: 3-line block ×3, first 2 shown]
	v_fma_f64 v[10:11], v[38:39], v[44:45], -v[10:11]
	v_fma_f64 v[12:13], v[48:49], v[56:57], v[12:13]
	v_fma_f64 v[14:15], v[50:51], v[56:57], -v[14:15]
	v_fma_f64 v[16:17], v[52:53], v[60:61], v[16:17]
	;; [unrolled: 2-line block ×5, first 2 shown]
	v_fma_f64 v[30:31], v[82:83], v[84:85], -v[30:31]
	ds_write_b128 v88, v[0:3] offset:2352
	ds_write_b128 v88, v[4:7] offset:3136
	;; [unrolled: 1-line block ×8, first 2 shown]
.LBB0_3:
	s_or_b64 exec, exec, s[6:7]
	s_load_dwordx2 s[6:7], s[4:5], 0x20
	s_load_dwordx2 s[2:3], s[4:5], 0x8
	s_waitcnt lgkmcnt(0)
	s_barrier
	s_waitcnt lgkmcnt(0)
                                        ; implicit-def: $vgpr16_vgpr17
                                        ; implicit-def: $vgpr20_vgpr21
                                        ; implicit-def: $vgpr24_vgpr25
                                        ; implicit-def: $vgpr28_vgpr29
                                        ; implicit-def: $vgpr32_vgpr33
                                        ; implicit-def: $vgpr36_vgpr37
                                        ; implicit-def: $vgpr40_vgpr41
                                        ; implicit-def: $vgpr44_vgpr45
                                        ; implicit-def: $vgpr48_vgpr49
                                        ; implicit-def: $vgpr52_vgpr53
                                        ; implicit-def: $vgpr56_vgpr57
	s_and_saveexec_b64 s[4:5], s[0:1]
	s_cbranch_execz .LBB0_5
; %bb.4:
	v_lshl_add_u32 v0, v185, 4, v182
	ds_read_b128 v[16:19], v0
	ds_read_b128 v[20:23], v0 offset:784
	ds_read_b128 v[24:27], v0 offset:1568
	;; [unrolled: 1-line block ×10, first 2 shown]
.LBB0_5:
	s_or_b64 exec, exec, s[4:5]
	s_waitcnt lgkmcnt(0)
	v_add_f64 v[101:102], v[22:23], -v[58:59]
	s_mov_b32 s22, 0xf8bb580b
	s_mov_b32 s23, 0xbfe14ced
	v_add_f64 v[76:77], v[20:21], v[56:57]
	v_add_f64 v[127:128], v[26:27], -v[54:55]
	s_mov_b32 s8, 0x8764f0ba
	s_mov_b32 s18, 0x8eee2c13
	;; [unrolled: 1-line block ×3, first 2 shown]
	v_mul_f64 v[60:61], v[101:102], s[22:23]
	s_mov_b32 s19, 0xbfed1bb4
	v_add_f64 v[84:85], v[20:21], -v[56:57]
	v_add_f64 v[92:93], v[24:25], v[52:53]
	v_mul_f64 v[64:65], v[127:128], s[18:19]
	v_add_f64 v[143:144], v[30:31], -v[50:51]
	s_mov_b32 s4, 0xd9c712b6
	s_mov_b32 s16, 0x43842ef
	v_fma_f64 v[0:1], v[76:77], s[8:9], v[60:61]
	s_mov_b32 s5, 0x3fda9628
	s_mov_b32 s17, 0xbfefac9e
	v_add_f64 v[113:114], v[22:23], v[58:59]
	v_add_f64 v[109:110], v[24:25], -v[52:53]
	v_fma_f64 v[4:5], v[92:93], s[4:5], v[64:65]
	v_add_f64 v[97:98], v[28:29], v[48:49]
	v_mul_f64 v[68:69], v[143:144], s[16:17]
	v_add_f64 v[0:1], v[16:17], v[0:1]
	v_add_f64 v[117:118], v[34:35], -v[46:47]
	v_mul_f64 v[78:79], v[101:102], s[18:19]
	v_mul_f64 v[123:124], v[84:85], s[18:19]
	s_mov_b32 s10, 0x640f44db
	s_mov_b32 s26, 0xbb3a28a1
	s_mov_b32 s11, 0xbfc2375f
	s_mov_b32 s27, 0xbfe82f19
	v_add_f64 v[137:138], v[26:27], v[54:55]
	v_add_f64 v[119:120], v[28:29], -v[48:49]
	v_add_f64 v[0:1], v[4:5], v[0:1]
	v_fma_f64 v[4:5], v[97:98], s[10:11], v[68:69]
	v_add_f64 v[107:108], v[32:33], v[44:45]
	v_mul_f64 v[72:73], v[117:118], s[26:27]
	v_fma_f64 v[8:9], v[76:77], s[4:5], v[78:79]
	v_mul_f64 v[86:87], v[127:128], s[26:27]
	v_fma_f64 v[10:11], v[113:114], s[4:5], -v[123:124]
	v_mul_f64 v[94:95], v[109:110], s[26:27]
	s_mov_b32 s20, 0x7f775887
	s_mov_b32 s34, 0xfd768dbf
	;; [unrolled: 1-line block ×4, first 2 shown]
	v_add_f64 v[145:146], v[30:31], v[50:51]
	v_add_f64 v[115:116], v[32:33], -v[44:45]
	v_add_f64 v[0:1], v[4:5], v[0:1]
	v_fma_f64 v[4:5], v[107:108], s[20:21], v[72:73]
	v_add_f64 v[8:9], v[16:17], v[8:9]
	v_fma_f64 v[12:13], v[92:93], s[20:21], v[86:87]
	v_add_f64 v[10:11], v[18:19], v[10:11]
	v_fma_f64 v[14:15], v[137:138], s[20:21], -v[94:95]
	v_mul_f64 v[88:89], v[143:144], s[34:35]
	v_mul_f64 v[103:104], v[119:120], s[34:35]
	s_mov_b32 s30, 0x9bcd5057
	s_mov_b32 s31, 0xbfeeb42a
	;; [unrolled: 1-line block ×4, first 2 shown]
	v_add_f64 v[131:132], v[34:35], v[46:47]
	v_add_f64 v[0:1], v[4:5], v[0:1]
	;; [unrolled: 1-line block ×4, first 2 shown]
	v_fma_f64 v[10:11], v[97:98], s[30:31], v[88:89]
	v_fma_f64 v[12:13], v[145:146], s[30:31], -v[103:104]
	v_mul_f64 v[90:91], v[117:118], s[28:29]
	v_mul_f64 v[105:106], v[115:116], s[28:29]
	;; [unrolled: 1-line block ×6, first 2 shown]
	v_add_f64 v[4:5], v[10:11], v[4:5]
	v_add_f64 v[8:9], v[12:13], v[8:9]
	v_fma_f64 v[10:11], v[107:108], s[10:11], v[90:91]
	v_fma_f64 v[12:13], v[131:132], s[10:11], -v[105:106]
	v_fma_f64 v[129:130], v[76:77], s[10:11], v[121:122]
	v_mul_f64 v[165:166], v[101:102], s[26:27]
	v_mul_f64 v[177:178], v[84:85], s[26:27]
	s_mov_b32 s39, 0x3fed1bb4
	s_mov_b32 s38, s18
	v_fma_f64 v[2:3], v[113:114], s[8:9], -v[62:63]
	v_mul_f64 v[66:67], v[109:110], s[18:19]
	v_add_f64 v[4:5], v[10:11], v[4:5]
	v_fma_f64 v[10:11], v[113:114], s[10:11], -v[157:158]
	v_add_f64 v[186:187], v[12:13], v[8:9]
	v_mul_f64 v[159:160], v[109:110], s[34:35]
	v_add_f64 v[12:13], v[16:17], v[129:130]
	v_fma_f64 v[139:140], v[92:93], s[30:31], v[125:126]
	v_mul_f64 v[129:130], v[143:144], s[38:39]
	v_fma_f64 v[151:152], v[76:77], s[20:21], v[165:166]
	v_mul_f64 v[161:162], v[127:128], s[28:29]
	v_fma_f64 v[155:156], v[113:114], s[20:21], -v[177:178]
	v_mul_f64 v[175:176], v[109:110], s[28:29]
	v_add_f64 v[2:3], v[18:19], v[2:3]
	v_fma_f64 v[6:7], v[137:138], s[4:5], -v[66:67]
	v_mul_f64 v[70:71], v[119:120], s[16:17]
	v_add_f64 v[10:11], v[18:19], v[10:11]
	;; [unrolled: 3-line block ×3, first 2 shown]
	v_fma_f64 v[139:140], v[97:98], s[4:5], v[129:130]
	v_add_f64 v[163:164], v[16:17], v[151:152]
	v_fma_f64 v[169:170], v[92:93], s[10:11], v[161:162]
	v_add_f64 v[155:156], v[18:19], v[155:156]
	v_fma_f64 v[171:172], v[137:138], s[10:11], -v[175:176]
	v_mul_f64 v[167:168], v[143:144], s[22:23]
	v_mul_f64 v[179:180], v[119:120], s[22:23]
	s_mov_b32 s37, 0xbfd207e7
	s_mov_b32 s36, s34
	v_add_f64 v[2:3], v[6:7], v[2:3]
	v_fma_f64 v[6:7], v[145:146], s[10:11], -v[70:71]
	v_mul_f64 v[74:75], v[115:116], s[26:27]
	v_add_f64 v[147:148], v[38:39], -v[42:43]
	v_add_f64 v[135:136], v[36:37], -v[40:41]
	v_add_f64 v[10:11], v[149:150], v[10:11]
	v_fma_f64 v[149:150], v[145:146], s[4:5], -v[141:142]
	v_add_f64 v[12:13], v[139:140], v[12:13]
	v_mul_f64 v[139:140], v[117:118], s[22:23]
	v_mul_f64 v[151:152], v[115:116], s[22:23]
	v_add_f64 v[169:170], v[169:170], v[163:164]
	v_add_f64 v[173:174], v[171:172], v[155:156]
	v_fma_f64 v[190:191], v[97:98], s[8:9], v[167:168]
	v_fma_f64 v[192:193], v[145:146], s[8:9], -v[179:180]
	v_mul_f64 v[163:164], v[117:118], s[36:37]
	v_mul_f64 v[171:172], v[115:116], s[36:37]
	s_mov_b32 s41, 0x3fe14ced
	s_mov_b32 s40, s22
	v_add_f64 v[2:3], v[6:7], v[2:3]
	v_fma_f64 v[6:7], v[131:132], s[20:21], -v[74:75]
	v_add_f64 v[133:134], v[36:37], v[40:41]
	v_add_f64 v[153:154], v[38:39], v[42:43]
	v_mul_f64 v[80:81], v[147:148], s[36:37]
	v_mul_f64 v[82:83], v[135:136], s[36:37]
	;; [unrolled: 1-line block ×4, first 2 shown]
	v_add_f64 v[10:11], v[149:150], v[10:11]
	v_fma_f64 v[194:195], v[107:108], s[8:9], v[139:140]
	v_fma_f64 v[196:197], v[131:132], s[8:9], -v[151:152]
	v_mul_f64 v[149:150], v[147:148], s[26:27]
	v_mul_f64 v[155:156], v[135:136], s[26:27]
	v_add_f64 v[190:191], v[190:191], v[169:170]
	v_add_f64 v[192:193], v[192:193], v[173:174]
	v_fma_f64 v[198:199], v[107:108], s[30:31], v[163:164]
	v_fma_f64 v[200:201], v[131:132], s[30:31], -v[171:172]
	v_mul_f64 v[169:170], v[147:148], s[38:39]
	v_mul_f64 v[173:174], v[135:136], s[38:39]
	v_add_f64 v[2:3], v[6:7], v[2:3]
	v_fma_f64 v[6:7], v[133:134], s[30:31], v[80:81]
	v_fma_f64 v[14:15], v[153:154], s[30:31], -v[82:83]
	v_fma_f64 v[8:9], v[133:134], s[8:9], v[99:100]
	v_fma_f64 v[188:189], v[153:154], s[8:9], -v[111:112]
	v_add_f64 v[194:195], v[194:195], v[12:13]
	v_add_f64 v[196:197], v[196:197], v[10:11]
	v_fma_f64 v[202:203], v[133:134], s[20:21], v[149:150]
	v_fma_f64 v[204:205], v[153:154], s[20:21], -v[155:156]
	v_add_f64 v[190:191], v[198:199], v[190:191]
	v_add_f64 v[192:193], v[200:201], v[192:193]
	;; [unrolled: 4-line block ×3, first 2 shown]
	v_add_f64 v[8:9], v[8:9], v[4:5]
	v_add_f64 v[10:11], v[188:189], v[186:187]
	;; [unrolled: 1-line block ×6, first 2 shown]
	v_mul_lo_u16_e32 v184, 11, v181
	s_barrier
	s_and_saveexec_b64 s[24:25], s[0:1]
	s_cbranch_execz .LBB0_7
; %bb.6:
	v_mul_f64 v[188:189], v[113:114], s[8:9]
	v_mul_f64 v[192:193], v[113:114], s[4:5]
	;; [unrolled: 1-line block ×12, first 2 shown]
	v_fma_f64 v[220:221], v[84:85], s[34:35], v[113:114]
	v_mul_f64 v[143:144], v[143:144], s[26:27]
	v_fma_f64 v[84:85], v[84:85], s[36:37], v[113:114]
	v_add_f64 v[177:178], v[177:178], v[200:201]
	v_mul_f64 v[186:187], v[76:77], s[8:9]
	v_fma_f64 v[232:233], v[109:110], s[22:23], v[137:138]
	v_fma_f64 v[236:237], v[76:77], s[30:31], v[101:102]
	v_mul_f64 v[190:191], v[76:77], s[4:5]
	v_add_f64 v[220:221], v[18:19], v[220:221]
	v_mul_f64 v[194:195], v[76:77], s[10:11]
	v_mul_f64 v[198:199], v[76:77], s[20:21]
	;; [unrolled: 1-line block ×5, first 2 shown]
	v_add_f64 v[236:237], v[16:17], v[236:237]
	v_mul_f64 v[234:235], v[145:146], s[4:5]
	v_add_f64 v[220:221], v[232:233], v[220:221]
	v_fma_f64 v[232:233], v[92:93], s[8:9], v[127:128]
	v_mul_f64 v[145:146], v[145:146], s[8:9]
	v_fma_f64 v[113:114], v[97:98], s[20:21], v[143:144]
	v_fma_f64 v[109:110], v[109:110], s[40:41], v[137:138]
	v_add_f64 v[84:85], v[18:19], v[84:85]
	v_add_f64 v[175:176], v[175:176], v[216:217]
	;; [unrolled: 1-line block ×3, first 2 shown]
	v_fma_f64 v[76:77], v[76:77], s[30:31], -v[101:102]
	v_add_f64 v[232:233], v[232:233], v[236:237]
	v_add_f64 v[22:23], v[18:19], v[22:23]
	v_add_f64 v[20:21], v[16:17], v[20:21]
	s_mov_b32 s23, 0x3fe82f19
	s_mov_b32 s22, s26
	v_mul_f64 v[202:203], v[92:93], s[4:5]
	v_mul_f64 v[206:207], v[92:93], s[20:21]
	;; [unrolled: 1-line block ×5, first 2 shown]
	v_fma_f64 v[240:241], v[119:120], s[22:23], v[230:231]
	v_mul_f64 v[236:237], v[131:132], s[20:21]
	v_mul_f64 v[137:138], v[131:132], s[10:11]
	v_add_f64 v[113:114], v[113:114], v[232:233]
	v_mul_f64 v[232:233], v[131:132], s[8:9]
	v_mul_f64 v[131:132], v[131:132], s[30:31]
	v_fma_f64 v[119:120], v[119:120], s[26:27], v[230:231]
	v_add_f64 v[84:85], v[109:110], v[84:85]
	v_fma_f64 v[92:93], v[92:93], s[8:9], -v[127:128]
	v_add_f64 v[145:146], v[179:180], v[145:146]
	v_add_f64 v[165:166], v[198:199], -v[165:166]
	v_add_f64 v[175:176], v[175:176], v[177:178]
	v_add_f64 v[248:249], v[16:17], v[76:77]
	;; [unrolled: 1-line block ×4, first 2 shown]
	v_mul_f64 v[218:219], v[97:98], s[10:11]
	v_mul_f64 v[224:225], v[97:98], s[30:31]
	;; [unrolled: 1-line block ×4, first 2 shown]
	v_fma_f64 v[246:247], v[115:116], s[18:19], v[238:239]
	v_add_f64 v[220:221], v[240:241], v[220:221]
	v_mul_f64 v[109:110], v[153:154], s[30:31]
	v_mul_f64 v[127:128], v[153:154], s[10:11]
	;; [unrolled: 1-line block ×5, first 2 shown]
	v_fma_f64 v[115:116], v[115:116], s[38:39], v[238:239]
	v_mul_f64 v[153:154], v[153:154], s[4:5]
	v_add_f64 v[84:85], v[119:120], v[84:85]
	v_fma_f64 v[97:98], v[97:98], s[20:21], -v[143:144]
	v_add_f64 v[92:93], v[92:93], v[248:249]
	v_add_f64 v[131:132], v[171:172], v[131:132]
	v_add_f64 v[161:162], v[214:215], -v[161:162]
	v_add_f64 v[165:166], v[16:17], v[165:166]
	v_add_f64 v[145:146], v[145:146], v[175:176]
	;; [unrolled: 1-line block ×4, first 2 shown]
	v_mul_f64 v[244:245], v[107:108], s[20:21]
	v_mul_f64 v[240:241], v[107:108], s[10:11]
	v_add_f64 v[220:221], v[246:247], v[220:221]
	v_mul_f64 v[246:247], v[107:108], s[8:9]
	v_mul_f64 v[200:201], v[107:108], s[30:31]
	v_fma_f64 v[198:199], v[135:136], s[28:29], v[127:128]
	v_mul_f64 v[147:148], v[147:148], s[16:17]
	v_fma_f64 v[143:144], v[107:108], s[4:5], v[117:118]
	v_fma_f64 v[127:128], v[135:136], s[16:17], v[127:128]
	v_add_f64 v[84:85], v[115:116], v[84:85]
	v_fma_f64 v[107:108], v[107:108], s[4:5], -v[117:118]
	v_add_f64 v[92:93], v[97:98], v[92:93]
	v_add_f64 v[97:98], v[173:174], v[153:154]
	v_add_f64 v[115:116], v[242:243], -v[167:168]
	v_add_f64 v[117:118], v[161:162], v[165:166]
	v_add_f64 v[131:132], v[131:132], v[145:146]
	;; [unrolled: 1-line block ×5, first 2 shown]
	v_mul_f64 v[230:231], v[133:134], s[30:31]
	v_mul_f64 v[216:217], v[133:134], s[8:9]
	;; [unrolled: 1-line block ×4, first 2 shown]
	v_fma_f64 v[119:120], v[133:134], s[10:11], v[147:148]
	v_add_f64 v[84:85], v[127:128], v[84:85]
	v_fma_f64 v[127:128], v[133:134], s[10:11], -v[147:148]
	v_add_f64 v[107:108], v[107:108], v[92:93]
	v_add_f64 v[133:134], v[200:201], -v[163:164]
	v_add_f64 v[115:116], v[115:116], v[117:118]
	v_add_f64 v[92:93], v[97:98], v[131:132]
	;; [unrolled: 1-line block ×8, first 2 shown]
	v_add_f64 v[36:37], v[186:187], -v[60:61]
	v_add_f64 v[121:122], v[194:195], -v[121:122]
	;; [unrolled: 1-line block ×3, first 2 shown]
	v_add_f64 v[115:116], v[133:134], v[115:116]
	v_add_f64 v[133:134], v[141:142], v[234:235]
	;; [unrolled: 1-line block ×9, first 2 shown]
	v_add_f64 v[62:63], v[202:203], -v[64:65]
	v_add_f64 v[36:37], v[16:17], v[36:37]
	v_add_f64 v[121:122], v[16:17], v[121:122]
	v_add_f64 v[60:61], v[206:207], -v[86:87]
	v_add_f64 v[16:17], v[16:17], v[38:39]
	v_add_f64 v[26:27], v[210:211], -v[125:126]
	v_add_f64 v[24:25], v[151:152], v[232:233]
	v_add_f64 v[97:98], v[133:134], v[97:98]
	v_add_f64 v[103:104], v[103:104], v[226:227]
	v_add_f64 v[94:95], v[94:95], v[117:118]
	v_add_f64 v[22:23], v[22:23], v[46:47]
	v_add_f64 v[20:21], v[20:21], v[44:45]
	v_add_f64 v[40:41], v[70:71], v[222:223]
	v_add_f64 v[18:19], v[66:67], v[18:19]
	v_add_f64 v[42:43], v[218:219], -v[68:69]
	v_add_f64 v[36:37], v[62:63], v[36:37]
	v_add_f64 v[38:39], v[224:225], -v[88:89]
	v_add_f64 v[16:17], v[60:61], v[16:17]
	v_add_f64 v[30:31], v[228:229], -v[129:130]
	v_add_f64 v[26:27], v[26:27], v[121:122]
	v_add_f64 v[24:25], v[24:25], v[97:98]
	v_add_f64 v[97:98], v[105:106], v[137:138]
	v_add_f64 v[94:95], v[103:104], v[94:95]
	v_add_f64 v[22:23], v[22:23], v[50:51]
	v_add_f64 v[20:21], v[20:21], v[48:49]
	v_add_f64 v[46:47], v[74:75], v[236:237]
	v_add_f64 v[18:19], v[40:41], v[18:19]
	v_add_f64 v[40:41], v[244:245], -v[72:73]
	;; [unrolled: 13-line block ×3, first 2 shown]
	v_add_f64 v[36:37], v[40:41], v[36:37]
	v_add_f64 v[38:39], v[216:217], -v[99:100]
	v_add_f64 v[16:17], v[44:45], v[16:17]
	v_add_f64 v[32:33], v[179:180], -v[149:150]
	;; [unrolled: 2-line block ×3, first 2 shown]
	v_add_f64 v[113:114], v[143:144], v[113:114]
	v_add_f64 v[18:19], v[28:29], v[24:25]
	;; [unrolled: 1-line block ×13, first 2 shown]
	v_add_lshl_u32 v32, v185, v184, 4
	ds_write_b128 v32, v[28:31]
	ds_write_b128 v32, v[24:27] offset:16
	ds_write_b128 v32, v[20:23] offset:32
	ds_write_b128 v32, v[16:19] offset:48
	ds_write_b128 v32, v[90:93] offset:64
	ds_write_b128 v32, v[82:85] offset:80
	ds_write_b128 v32, v[74:77] offset:96
	ds_write_b128 v32, v[0:3] offset:112
	ds_write_b128 v32, v[4:7] offset:128
	ds_write_b128 v32, v[8:11] offset:144
	ds_write_b128 v32, v[12:15] offset:160
.LBB0_7:
	s_or_b64 exec, exec, s[24:25]
	s_movk_i32 s8, 0x75
	v_mul_lo_u16_sdwa v16, v181, s8 dst_sel:DWORD dst_unused:UNUSED_PAD src0_sel:BYTE_0 src1_sel:DWORD
	v_sub_u16_sdwa v17, v181, v16 dst_sel:DWORD dst_unused:UNUSED_PAD src0_sel:DWORD src1_sel:BYTE_1
	v_lshrrev_b16_e32 v17, 1, v17
	v_and_b32_e32 v17, 0x7f, v17
	v_add_u16_sdwa v16, v17, v16 dst_sel:DWORD dst_unused:UNUSED_PAD src0_sel:DWORD src1_sel:BYTE_1
	v_lshrrev_b16_e32 v68, 3, v16
	v_mul_lo_u16_e32 v16, 11, v68
	v_sub_u16_e32 v69, v181, v16
	v_mov_b32_e32 v16, 6
	v_mul_u32_u24_sdwa v16, v69, v16 dst_sel:DWORD dst_unused:UNUSED_PAD src0_sel:BYTE_0 src1_sel:DWORD
	v_lshlrev_b32_e32 v40, 4, v16
	s_load_dwordx4 s[4:7], s[6:7], 0x0
	s_waitcnt lgkmcnt(0)
	s_barrier
	global_load_dwordx4 v[28:31], v40, s[2:3]
	global_load_dwordx4 v[24:27], v40, s[2:3] offset:16
	global_load_dwordx4 v[20:23], v40, s[2:3] offset:32
	;; [unrolled: 1-line block ×5, first 2 shown]
	v_add_lshl_u32 v110, v185, v181, 4
	ds_read_b128 v[40:43], v110
	ds_read_b128 v[44:47], v110 offset:1232
	ds_read_b128 v[48:51], v110 offset:2464
	;; [unrolled: 1-line block ×6, first 2 shown]
	v_mul_u32_u24_e32 v68, 0x4d, v68
	v_add_u32_sdwa v68, v68, v69 dst_sel:DWORD dst_unused:UNUSED_PAD src0_sel:DWORD src1_sel:BYTE_0
	v_add_lshl_u32 v111, v185, v68, 4
	s_mov_b32 s10, 0x37e14327
	s_mov_b32 s8, 0x36b3c0b5
	s_mov_b32 s20, 0xe976ee23
	s_mov_b32 s11, 0x3fe948f6
	s_mov_b32 s9, 0x3fac98ee
	s_mov_b32 s21, 0xbfe11646
	s_mov_b32 s16, 0x429ad128
	s_mov_b32 s17, 0x3febfeb5
	s_mov_b32 s18, 0xaaaaaaaa
	s_mov_b32 s22, 0x5476071b
	s_mov_b32 s26, 0xb247c609
	s_mov_b32 s19, 0xbff2aaaa
	s_mov_b32 s23, 0x3fe77f67
	s_mov_b32 s25, 0xbfe77f67
	s_mov_b32 s27, 0x3fd5d0dc
	s_mov_b32 s24, s22
	s_mov_b32 s31, 0xbfd5d0dc
	s_mov_b32 s30, s26
	s_mov_b32 s28, 0x37c3f68c
	s_mov_b32 s29, 0x3fdc38aa
	s_waitcnt vmcnt(0) lgkmcnt(0)
	s_barrier
	s_movk_i32 s33, 0x60
	v_lshl_add_u32 v109, v181, 4, v183
	v_mul_f64 v[68:69], v[46:47], v[30:31]
	v_mul_f64 v[70:71], v[44:45], v[30:31]
	;; [unrolled: 1-line block ×12, first 2 shown]
	v_fma_f64 v[44:45], v[44:45], v[28:29], -v[68:69]
	v_fma_f64 v[46:47], v[46:47], v[28:29], v[70:71]
	v_fma_f64 v[48:49], v[48:49], v[24:25], -v[72:73]
	v_fma_f64 v[50:51], v[50:51], v[24:25], v[74:75]
	v_fma_f64 v[64:65], v[64:65], v[32:33], -v[84:85]
	v_fma_f64 v[66:67], v[66:67], v[32:33], v[86:87]
	v_fma_f64 v[60:61], v[60:61], v[36:37], -v[88:89]
	v_fma_f64 v[62:63], v[62:63], v[36:37], v[90:91]
	v_fma_f64 v[52:53], v[52:53], v[20:21], -v[76:77]
	v_fma_f64 v[54:55], v[54:55], v[20:21], v[78:79]
	v_fma_f64 v[56:57], v[56:57], v[16:17], -v[80:81]
	v_fma_f64 v[58:59], v[58:59], v[16:17], v[82:83]
	v_add_f64 v[68:69], v[44:45], v[64:65]
	v_add_f64 v[70:71], v[46:47], v[66:67]
	v_add_f64 v[44:45], v[44:45], -v[64:65]
	v_add_f64 v[46:47], v[46:47], -v[66:67]
	v_add_f64 v[64:65], v[48:49], v[60:61]
	v_add_f64 v[66:67], v[50:51], v[62:63]
	v_add_f64 v[48:49], v[48:49], -v[60:61]
	v_add_f64 v[50:51], v[50:51], -v[62:63]
	;; [unrolled: 4-line block ×4, first 2 shown]
	v_add_f64 v[68:69], v[68:69], -v[60:61]
	v_add_f64 v[70:71], v[70:71], -v[62:63]
	;; [unrolled: 1-line block ×4, first 2 shown]
	v_add_f64 v[76:77], v[52:53], v[48:49]
	v_add_f64 v[78:79], v[54:55], v[50:51]
	v_add_f64 v[80:81], v[52:53], -v[48:49]
	v_add_f64 v[82:83], v[54:55], -v[50:51]
	v_add_f64 v[56:57], v[60:61], v[56:57]
	v_add_f64 v[58:59], v[62:63], v[58:59]
	v_add_f64 v[48:49], v[48:49], -v[44:45]
	v_add_f64 v[50:51], v[50:51], -v[46:47]
	;; [unrolled: 1-line block ×4, first 2 shown]
	v_add_f64 v[44:45], v[76:77], v[44:45]
	v_add_f64 v[46:47], v[78:79], v[46:47]
	v_mul_f64 v[60:61], v[68:69], s[10:11]
	v_mul_f64 v[62:63], v[70:71], s[10:11]
	;; [unrolled: 1-line block ×6, first 2 shown]
	v_add_f64 v[40:41], v[40:41], v[56:57]
	v_add_f64 v[42:43], v[42:43], v[58:59]
	v_mul_f64 v[80:81], v[48:49], s[16:17]
	v_mul_f64 v[82:83], v[50:51], s[16:17]
	v_fma_f64 v[64:65], v[64:65], s[8:9], v[60:61]
	v_fma_f64 v[66:67], v[66:67], s[8:9], v[62:63]
	v_fma_f64 v[68:69], v[72:73], s[22:23], -v[68:69]
	v_fma_f64 v[70:71], v[74:75], s[22:23], -v[70:71]
	;; [unrolled: 1-line block ×4, first 2 shown]
	v_fma_f64 v[72:73], v[52:53], s[26:27], v[76:77]
	v_fma_f64 v[74:75], v[54:55], s[26:27], v[78:79]
	;; [unrolled: 1-line block ×4, first 2 shown]
	v_fma_f64 v[52:53], v[52:53], s[30:31], -v[80:81]
	v_fma_f64 v[54:55], v[54:55], s[30:31], -v[82:83]
	;; [unrolled: 1-line block ×4, first 2 shown]
	v_fma_f64 v[72:73], v[44:45], s[28:29], v[72:73]
	v_fma_f64 v[74:75], v[46:47], s[28:29], v[74:75]
	v_add_f64 v[64:65], v[64:65], v[56:57]
	v_add_f64 v[66:67], v[66:67], v[58:59]
	v_fma_f64 v[80:81], v[44:45], s[28:29], v[52:53]
	v_fma_f64 v[82:83], v[46:47], s[28:29], v[54:55]
	v_add_f64 v[60:61], v[60:61], v[56:57]
	v_add_f64 v[62:63], v[62:63], v[58:59]
	;; [unrolled: 4-line block ×3, first 2 shown]
	v_add_f64 v[44:45], v[74:75], v[64:65]
	v_add_f64 v[46:47], v[66:67], -v[72:73]
	v_add_f64 v[48:49], v[82:83], v[60:61]
	v_add_f64 v[50:51], v[62:63], -v[80:81]
	v_add_f64 v[60:61], v[60:61], -v[82:83]
	v_add_f64 v[62:63], v[80:81], v[62:63]
	v_add_f64 v[52:53], v[56:57], -v[78:79]
	v_add_f64 v[54:55], v[76:77], v[58:59]
	v_add_f64 v[56:57], v[78:79], v[56:57]
	v_add_f64 v[58:59], v[58:59], -v[76:77]
	v_add_f64 v[64:65], v[64:65], -v[74:75]
	v_add_f64 v[66:67], v[72:73], v[66:67]
	ds_write_b128 v111, v[40:43]
	ds_write_b128 v111, v[44:47] offset:176
	ds_write_b128 v111, v[48:51] offset:352
	;; [unrolled: 1-line block ×6, first 2 shown]
	v_mov_b32_e32 v41, s3
	v_mov_b32_e32 v40, s2
	v_mad_u64_u32 v[64:65], s[2:3], v181, s33, v[40:41]
	s_waitcnt lgkmcnt(0)
	s_barrier
	global_load_dwordx4 v[52:55], v[64:65], off offset:1056
	global_load_dwordx4 v[48:51], v[64:65], off offset:1072
	;; [unrolled: 1-line block ×6, first 2 shown]
	ds_read_b128 v[64:67], v110
	ds_read_b128 v[68:71], v110 offset:1232
	ds_read_b128 v[72:75], v110 offset:2464
	;; [unrolled: 1-line block ×6, first 2 shown]
	s_waitcnt vmcnt(5) lgkmcnt(5)
	v_mul_f64 v[92:93], v[70:71], v[54:55]
	v_mul_f64 v[94:95], v[68:69], v[54:55]
	s_waitcnt vmcnt(4) lgkmcnt(4)
	v_mul_f64 v[97:98], v[74:75], v[50:51]
	v_mul_f64 v[99:100], v[72:73], v[50:51]
	;; [unrolled: 3-line block ×3, first 2 shown]
	s_waitcnt vmcnt(0)
	v_mul_f64 v[116:117], v[86:87], v[62:63]
	v_mul_f64 v[118:119], v[84:85], v[62:63]
	;; [unrolled: 1-line block ×6, first 2 shown]
	v_fma_f64 v[68:69], v[68:69], v[52:53], -v[92:93]
	v_fma_f64 v[70:71], v[70:71], v[52:53], v[94:95]
	v_fma_f64 v[72:73], v[72:73], v[48:49], -v[97:98]
	v_fma_f64 v[74:75], v[74:75], v[48:49], v[99:100]
	;; [unrolled: 2-line block ×6, first 2 shown]
	v_add_f64 v[92:93], v[68:69], v[88:89]
	v_add_f64 v[94:95], v[70:71], v[90:91]
	v_add_f64 v[68:69], v[68:69], -v[88:89]
	v_add_f64 v[70:71], v[70:71], -v[90:91]
	v_add_f64 v[88:89], v[72:73], v[84:85]
	v_add_f64 v[90:91], v[74:75], v[86:87]
	v_add_f64 v[72:73], v[72:73], -v[84:85]
	v_add_f64 v[74:75], v[74:75], -v[86:87]
	;; [unrolled: 4-line block ×4, first 2 shown]
	v_add_f64 v[92:93], v[92:93], -v[84:85]
	v_add_f64 v[94:95], v[94:95], -v[86:87]
	;; [unrolled: 1-line block ×4, first 2 shown]
	v_add_f64 v[101:102], v[76:77], v[72:73]
	v_add_f64 v[103:104], v[78:79], v[74:75]
	v_add_f64 v[105:106], v[76:77], -v[72:73]
	v_add_f64 v[107:108], v[78:79], -v[74:75]
	v_add_f64 v[72:73], v[72:73], -v[68:69]
	v_add_f64 v[74:75], v[74:75], -v[70:71]
	v_add_f64 v[80:81], v[84:85], v[80:81]
	v_add_f64 v[82:83], v[86:87], v[82:83]
	v_add_f64 v[76:77], v[68:69], -v[76:77]
	v_add_f64 v[78:79], v[70:71], -v[78:79]
	v_add_f64 v[68:69], v[101:102], v[68:69]
	v_add_f64 v[70:71], v[103:104], v[70:71]
	v_mul_f64 v[84:85], v[92:93], s[10:11]
	v_mul_f64 v[86:87], v[94:95], s[10:11]
	;; [unrolled: 1-line block ×8, first 2 shown]
	v_add_f64 v[64:65], v[64:65], v[80:81]
	v_add_f64 v[66:67], v[66:67], v[82:83]
	v_fma_f64 v[88:89], v[88:89], s[8:9], v[84:85]
	v_fma_f64 v[90:91], v[90:91], s[8:9], v[86:87]
	v_fma_f64 v[92:93], v[97:98], s[22:23], -v[92:93]
	v_fma_f64 v[94:95], v[99:100], s[22:23], -v[94:95]
	;; [unrolled: 1-line block ×4, first 2 shown]
	v_fma_f64 v[97:98], v[76:77], s[26:27], v[101:102]
	v_fma_f64 v[99:100], v[78:79], s[26:27], v[103:104]
	v_fma_f64 v[72:73], v[72:73], s[16:17], -v[101:102]
	v_fma_f64 v[74:75], v[74:75], s[16:17], -v[103:104]
	;; [unrolled: 1-line block ×4, first 2 shown]
	v_fma_f64 v[80:81], v[80:81], s[18:19], v[64:65]
	v_fma_f64 v[82:83], v[82:83], s[18:19], v[66:67]
	;; [unrolled: 1-line block ×8, first 2 shown]
	v_add_f64 v[88:89], v[88:89], v[80:81]
	v_add_f64 v[90:91], v[90:91], v[82:83]
	;; [unrolled: 1-line block ×7, first 2 shown]
	v_add_f64 v[70:71], v[90:91], -v[97:98]
	v_add_f64 v[72:73], v[107:108], v[84:85]
	v_add_f64 v[74:75], v[86:87], -v[105:106]
	v_add_f64 v[76:77], v[80:81], -v[103:104]
	v_add_f64 v[78:79], v[101:102], v[82:83]
	v_add_f64 v[80:81], v[103:104], v[80:81]
	v_add_f64 v[82:83], v[82:83], -v[101:102]
	v_add_f64 v[84:85], v[84:85], -v[107:108]
	v_add_f64 v[86:87], v[105:106], v[86:87]
	v_add_f64 v[88:89], v[88:89], -v[99:100]
	v_add_f64 v[90:91], v[97:98], v[90:91]
	ds_write_b128 v109, v[64:67]
	ds_write_b128 v109, v[68:71] offset:1232
	ds_write_b128 v109, v[72:75] offset:2464
	;; [unrolled: 1-line block ×6, first 2 shown]
	s_waitcnt lgkmcnt(0)
	s_barrier
	s_and_saveexec_b64 s[8:9], s[0:1]
	s_cbranch_execz .LBB0_9
; %bb.8:
	v_mov_b32_e32 v92, s15
	v_add_co_u32_e32 v128, vcc, s14, v182
	v_addc_co_u32_e32 v133, vcc, 0, v92, vcc
	v_add_co_u32_e32 v136, vcc, 0x21b0, v128
	v_addc_co_u32_e32 v137, vcc, 0, v133, vcc
	s_movk_i32 s2, 0x3000
	global_load_dwordx4 v[92:95], v[136:137], off offset:784
	global_load_dwordx4 v[97:100], v[136:137], off offset:1568
	;; [unrolled: 1-line block ×4, first 2 shown]
	v_add_co_u32_e64 v124, s[2:3], s2, v128
	v_addc_co_u32_e64 v125, s[2:3], 0, v133, s[2:3]
	s_movk_i32 s2, 0x4000
	v_add_co_u32_e32 v132, vcc, 0x2000, v128
	v_add_co_u32_e64 v128, s[2:3], s2, v128
	global_load_dwordx4 v[112:115], v[124:125], off offset:1040
	global_load_dwordx4 v[116:119], v[124:125], off offset:1824
	;; [unrolled: 1-line block ×3, first 2 shown]
	s_nop 0
	global_load_dwordx4 v[124:127], v[124:125], off offset:3392
	v_addc_co_u32_e64 v129, s[2:3], 0, v133, s[2:3]
	v_addc_co_u32_e32 v133, vcc, 0, v133, vcc
	global_load_dwordx4 v[128:131], v[128:129], off offset:80
	s_nop 0
	global_load_dwordx4 v[132:135], v[132:133], off offset:432
	s_nop 0
	global_load_dwordx4 v[136:139], v[136:137], off offset:3920
	ds_read_b128 v[140:143], v109
	ds_read_b128 v[144:147], v109 offset:784
	ds_read_b128 v[148:151], v109 offset:1568
	;; [unrolled: 1-line block ×10, first 2 shown]
	s_waitcnt vmcnt(10) lgkmcnt(9)
	v_mul_f64 v[189:190], v[146:147], v[94:95]
	v_mul_f64 v[94:95], v[144:145], v[94:95]
	s_waitcnt vmcnt(9) lgkmcnt(8)
	v_mul_f64 v[191:192], v[150:151], v[99:100]
	v_mul_f64 v[99:100], v[148:149], v[99:100]
	;; [unrolled: 3-line block ×4, first 2 shown]
	v_fma_f64 v[144:145], v[144:145], v[92:93], -v[189:190]
	v_fma_f64 v[146:147], v[146:147], v[92:93], v[94:95]
	s_waitcnt vmcnt(6) lgkmcnt(4)
	v_mul_f64 v[197:198], v[166:167], v[114:115]
	v_mul_f64 v[114:115], v[164:165], v[114:115]
	s_waitcnt vmcnt(5) lgkmcnt(3)
	v_mul_f64 v[199:200], v[170:171], v[118:119]
	v_mul_f64 v[118:119], v[168:169], v[118:119]
	;; [unrolled: 3-line block ×5, first 2 shown]
	s_waitcnt vmcnt(1)
	v_mul_f64 v[207:208], v[142:143], v[134:135]
	v_mul_f64 v[134:135], v[140:141], v[134:135]
	s_waitcnt vmcnt(0)
	v_mul_f64 v[209:210], v[162:163], v[138:139]
	v_mul_f64 v[138:139], v[160:161], v[138:139]
	v_fma_f64 v[92:93], v[148:149], v[97:98], -v[191:192]
	v_fma_f64 v[94:95], v[150:151], v[97:98], v[99:100]
	v_fma_f64 v[97:98], v[152:153], v[101:102], -v[193:194]
	v_fma_f64 v[99:100], v[154:155], v[101:102], v[103:104]
	;; [unrolled: 2-line block ×10, first 2 shown]
	ds_write_b128 v109, v[144:147] offset:784
	ds_write_b128 v109, v[92:95] offset:1568
	ds_write_b128 v109, v[97:100] offset:2352
	ds_write_b128 v109, v[101:104] offset:3136
	ds_write_b128 v109, v[105:108] offset:4704
	ds_write_b128 v109, v[112:115] offset:5488
	ds_write_b128 v109, v[116:119] offset:6272
	ds_write_b128 v109, v[120:123] offset:7056
	ds_write_b128 v109, v[128:131]
	ds_write_b128 v109, v[132:135] offset:3920
	ds_write_b128 v109, v[124:127] offset:7840
.LBB0_9:
	s_or_b64 exec, exec, s[8:9]
	s_waitcnt lgkmcnt(0)
	s_barrier
	s_and_saveexec_b64 s[2:3], s[0:1]
	s_cbranch_execz .LBB0_11
; %bb.10:
	ds_read_b128 v[64:67], v109
	ds_read_b128 v[68:71], v109 offset:784
	ds_read_b128 v[72:75], v109 offset:1568
	;; [unrolled: 1-line block ×10, first 2 shown]
.LBB0_11:
	s_or_b64 exec, exec, s[2:3]
	s_waitcnt lgkmcnt(0)
	s_barrier
	s_and_saveexec_b64 s[2:3], s[0:1]
	s_cbranch_execz .LBB0_13
; %bb.12:
	v_add_f64 v[132:133], v[68:69], -v[12:13]
	v_add_f64 v[136:137], v[70:71], -v[14:15]
	s_mov_b32 s24, 0xfd768dbf
	s_mov_b32 s25, 0xbfd207e7
	v_add_f64 v[134:135], v[72:73], -v[8:9]
	v_add_f64 v[138:139], v[70:71], v[14:15]
	v_add_f64 v[140:141], v[74:75], -v[10:11]
	v_add_f64 v[142:143], v[68:69], v[12:13]
	v_mul_f64 v[114:115], v[132:133], s[24:25]
	v_mul_f64 v[118:119], v[136:137], s[24:25]
	s_mov_b32 s30, 0xf8bb580b
	s_mov_b32 s22, 0x9bcd5057
	;; [unrolled: 1-line block ×4, first 2 shown]
	v_add_f64 v[107:108], v[76:77], -v[4:5]
	v_mul_f64 v[116:117], v[134:135], s[30:31]
	v_add_f64 v[144:145], v[74:75], v[10:11]
	v_fma_f64 v[120:121], v[138:139], s[22:23], v[114:115]
	v_add_f64 v[146:147], v[78:79], -v[6:7]
	v_add_f64 v[148:149], v[72:73], v[8:9]
	v_mul_f64 v[122:123], v[140:141], s[30:31]
	v_fma_f64 v[124:125], v[142:143], s[22:23], -v[118:119]
	s_mov_b32 s20, 0xbb3a28a1
	s_mov_b32 s26, 0x8764f0ba
	;; [unrolled: 1-line block ×4, first 2 shown]
	v_add_f64 v[105:106], v[80:81], -v[0:1]
	v_mul_f64 v[94:95], v[107:108], s[20:21]
	v_add_f64 v[103:104], v[78:79], v[6:7]
	v_fma_f64 v[126:127], v[144:145], s[26:27], v[116:117]
	v_add_f64 v[120:121], v[66:67], v[120:121]
	v_add_f64 v[150:151], v[82:83], -v[2:3]
	v_add_f64 v[152:153], v[76:77], v[4:5]
	v_mul_f64 v[128:129], v[146:147], s[20:21]
	v_fma_f64 v[130:131], v[148:149], s[26:27], -v[122:123]
	v_add_f64 v[124:125], v[64:65], v[124:125]
	s_mov_b32 s18, 0x7f775887
	s_mov_b32 s11, 0x3fed1bb4
	s_mov_b32 s10, 0x8eee2c13
	s_mov_b32 s19, 0xbfe4f49e
	v_add_f64 v[99:100], v[84:85], -v[88:89]
	v_mul_f64 v[92:93], v[105:106], s[10:11]
	v_add_f64 v[101:102], v[82:83], v[2:3]
	v_fma_f64 v[154:155], v[103:104], s[18:19], v[94:95]
	v_fma_f64 v[114:115], v[138:139], s[22:23], -v[114:115]
	v_add_f64 v[120:121], v[126:127], v[120:121]
	v_add_f64 v[156:157], v[86:87], -v[90:91]
	v_add_f64 v[158:159], v[80:81], v[0:1]
	v_mul_f64 v[126:127], v[150:151], s[10:11]
	v_fma_f64 v[160:161], v[152:153], s[18:19], -v[128:129]
	v_add_f64 v[124:125], v[130:131], v[124:125]
	s_mov_b32 s8, 0x43842ef
	s_mov_b32 s16, 0xd9c712b6
	;; [unrolled: 1-line block ×4, first 2 shown]
	v_add_f64 v[97:98], v[86:87], v[90:91]
	v_mul_f64 v[112:113], v[99:100], s[8:9]
	v_fma_f64 v[116:117], v[144:145], s[26:27], -v[116:117]
	v_add_f64 v[114:115], v[66:67], v[114:115]
	v_fma_f64 v[130:131], v[101:102], s[16:17], v[92:93]
	v_add_f64 v[120:121], v[154:155], v[120:121]
	v_add_f64 v[154:155], v[84:85], v[88:89]
	v_mul_f64 v[162:163], v[156:157], s[8:9]
	v_fma_f64 v[164:165], v[158:159], s[16:17], -v[126:127]
	v_add_f64 v[124:125], v[160:161], v[124:125]
	s_mov_b32 s28, 0x640f44db
	s_mov_b32 s29, 0xbfc2375f
	v_fma_f64 v[94:95], v[103:104], s[18:19], -v[94:95]
	v_add_f64 v[114:115], v[116:117], v[114:115]
	v_fma_f64 v[116:117], v[97:98], s[28:29], v[112:113]
	v_add_f64 v[120:121], v[130:131], v[120:121]
	v_fma_f64 v[130:131], v[154:155], s[28:29], -v[162:163]
	v_add_f64 v[124:125], v[164:165], v[124:125]
	v_fma_f64 v[160:161], v[101:102], s[16:17], -v[92:93]
	v_fma_f64 v[118:119], v[142:143], s[22:23], v[118:119]
	s_mov_b32 s37, 0x3fefac9e
	v_add_f64 v[114:115], v[94:95], v[114:115]
	s_mov_b32 s36, s8
	v_add_f64 v[94:95], v[116:117], v[120:121]
	v_mul_f64 v[120:121], v[132:133], s[20:21]
	v_add_f64 v[92:93], v[130:131], v[124:125]
	v_fma_f64 v[124:125], v[152:153], s[18:19], v[128:129]
	v_mul_f64 v[128:129], v[136:137], s[20:21]
	v_fma_f64 v[116:117], v[154:155], s[28:29], v[162:163]
	v_add_f64 v[114:115], v[160:161], v[114:115]
	v_fma_f64 v[122:123], v[148:149], s[26:27], v[122:123]
	v_mul_f64 v[130:131], v[134:135], s[36:37]
	v_fma_f64 v[160:161], v[138:139], s[18:19], v[120:121]
	v_add_f64 v[118:119], v[64:65], v[118:119]
	v_mul_f64 v[162:163], v[140:141], s[36:37]
	v_fma_f64 v[164:165], v[142:143], s[18:19], -v[128:129]
	s_mov_b32 s35, 0xbfe14ced
	s_mov_b32 s34, s30
	v_mul_f64 v[166:167], v[107:108], s[34:35]
	v_fma_f64 v[168:169], v[144:145], s[28:29], v[130:131]
	v_add_f64 v[160:161], v[66:67], v[160:161]
	v_add_f64 v[118:119], v[122:123], v[118:119]
	v_fma_f64 v[122:123], v[158:159], s[16:17], v[126:127]
	v_mul_f64 v[126:127], v[146:147], s[34:35]
	v_fma_f64 v[170:171], v[148:149], s[28:29], -v[162:163]
	v_add_f64 v[164:165], v[64:65], v[164:165]
	v_mul_f64 v[172:173], v[105:106], s[24:25]
	v_fma_f64 v[174:175], v[103:104], s[26:27], v[166:167]
	v_add_f64 v[160:161], v[168:169], v[160:161]
	v_add_f64 v[118:119], v[124:125], v[118:119]
	v_fma_f64 v[120:121], v[138:139], s[18:19], -v[120:121]
	v_mul_f64 v[124:125], v[150:151], s[24:25]
	v_fma_f64 v[168:169], v[152:153], s[26:27], -v[126:127]
	v_add_f64 v[164:165], v[170:171], v[164:165]
	v_mul_f64 v[170:171], v[99:100], s[10:11]
	v_fma_f64 v[176:177], v[101:102], s[22:23], v[172:173]
	v_add_f64 v[160:161], v[174:175], v[160:161]
	v_fma_f64 v[130:131], v[144:145], s[28:29], -v[130:131]
	v_add_f64 v[120:121], v[66:67], v[120:121]
	v_mul_f64 v[174:175], v[156:157], s[10:11]
	v_fma_f64 v[178:179], v[158:159], s[22:23], -v[124:125]
	v_add_f64 v[164:165], v[168:169], v[164:165]
	v_fma_f64 v[128:129], v[142:143], s[18:19], v[128:129]
	v_fma_f64 v[112:113], v[97:98], s[28:29], -v[112:113]
	v_add_f64 v[118:119], v[122:123], v[118:119]
	v_fma_f64 v[122:123], v[97:98], s[16:17], v[170:171]
	v_add_f64 v[120:121], v[130:131], v[120:121]
	v_add_f64 v[130:131], v[176:177], v[160:161]
	v_fma_f64 v[160:161], v[154:155], s[16:17], -v[174:175]
	v_add_f64 v[164:165], v[178:179], v[164:165]
	v_fma_f64 v[162:163], v[148:149], s[28:29], v[162:163]
	v_add_f64 v[128:129], v[64:65], v[128:129]
	v_fma_f64 v[166:167], v[103:104], s[26:27], -v[166:167]
	v_add_f64 v[114:115], v[112:113], v[114:115]
	v_add_f64 v[112:113], v[116:117], v[118:119]
	;; [unrolled: 1-line block ×3, first 2 shown]
	v_fma_f64 v[126:127], v[152:153], s[26:27], v[126:127]
	v_add_f64 v[116:117], v[160:161], v[164:165]
	v_mul_f64 v[130:131], v[132:133], s[8:9]
	v_add_f64 v[128:129], v[162:163], v[128:129]
	v_mul_f64 v[160:161], v[136:137], s[8:9]
	s_mov_b32 s39, 0x3fd207e7
	s_mov_b32 s38, s24
	v_fma_f64 v[168:169], v[101:102], s[22:23], -v[172:173]
	v_add_f64 v[120:121], v[166:167], v[120:121]
	v_fma_f64 v[124:125], v[158:159], s[22:23], v[124:125]
	v_mul_f64 v[162:163], v[134:135], s[38:39]
	v_fma_f64 v[164:165], v[138:139], s[28:29], v[130:131]
	v_add_f64 v[126:127], v[126:127], v[128:129]
	v_mul_f64 v[128:129], v[140:141], s[38:39]
	v_fma_f64 v[166:167], v[142:143], s[28:29], -v[160:161]
	v_fma_f64 v[122:123], v[97:98], s[16:17], -v[170:171]
	v_add_f64 v[120:121], v[168:169], v[120:121]
	v_mul_f64 v[168:169], v[107:108], s[10:11]
	v_fma_f64 v[170:171], v[144:145], s[22:23], v[162:163]
	v_add_f64 v[164:165], v[66:67], v[164:165]
	v_add_f64 v[124:125], v[124:125], v[126:127]
	v_mul_f64 v[172:173], v[146:147], s[10:11]
	v_fma_f64 v[126:127], v[138:139], s[28:29], -v[130:131]
	v_fma_f64 v[130:131], v[148:149], s[22:23], -v[128:129]
	v_add_f64 v[166:167], v[64:65], v[166:167]
	v_add_f64 v[122:123], v[122:123], v[120:121]
	v_fma_f64 v[120:121], v[154:155], s[16:17], v[174:175]
	v_mul_f64 v[174:175], v[105:106], s[34:35]
	v_fma_f64 v[176:177], v[103:104], s[16:17], v[168:169]
	v_add_f64 v[164:165], v[170:171], v[164:165]
	v_mul_f64 v[170:171], v[150:151], s[34:35]
	v_fma_f64 v[162:163], v[144:145], s[22:23], -v[162:163]
	v_add_f64 v[126:127], v[66:67], v[126:127]
	v_fma_f64 v[178:179], v[152:153], s[16:17], -v[172:173]
	v_add_f64 v[130:131], v[130:131], v[166:167]
	v_mul_f64 v[166:167], v[99:100], s[20:21]
	v_fma_f64 v[185:186], v[101:102], s[26:27], v[174:175]
	v_add_f64 v[164:165], v[176:177], v[164:165]
	v_mul_f64 v[176:177], v[156:157], s[20:21]
	v_fma_f64 v[168:169], v[103:104], s[16:17], -v[168:169]
	v_add_f64 v[126:127], v[162:163], v[126:127]
	v_fma_f64 v[162:163], v[158:159], s[26:27], -v[170:171]
	v_add_f64 v[130:131], v[178:179], v[130:131]
	v_fma_f64 v[160:161], v[142:143], s[28:29], v[160:161]
	v_add_f64 v[120:121], v[120:121], v[124:125]
	v_fma_f64 v[124:125], v[97:98], s[18:19], v[166:167]
	v_add_f64 v[164:165], v[185:186], v[164:165]
	v_fma_f64 v[174:175], v[101:102], s[26:27], -v[174:175]
	v_add_f64 v[126:127], v[168:169], v[126:127]
	v_fma_f64 v[168:169], v[154:155], s[18:19], -v[176:177]
	v_add_f64 v[130:131], v[162:163], v[130:131]
	v_fma_f64 v[128:129], v[148:149], s[22:23], v[128:129]
	v_add_f64 v[160:161], v[64:65], v[160:161]
	s_mov_b32 s11, 0xbfed1bb4
	v_add_f64 v[70:71], v[66:67], v[70:71]
	v_add_f64 v[68:69], v[64:65], v[68:69]
	;; [unrolled: 1-line block ×5, first 2 shown]
	v_fma_f64 v[168:169], v[152:153], s[16:17], v[172:173]
	v_add_f64 v[128:129], v[128:129], v[160:161]
	v_fma_f64 v[162:163], v[97:98], s[18:19], -v[166:167]
	v_mul_f64 v[166:167], v[132:133], s[10:11]
	v_mul_f64 v[164:165], v[136:137], s[10:11]
	v_fma_f64 v[160:161], v[158:159], s[26:27], v[170:171]
	v_add_f64 v[70:71], v[70:71], v[74:75]
	v_add_f64 v[72:73], v[68:69], v[72:73]
	v_mul_f64 v[172:173], v[134:135], s[20:21]
	v_add_f64 v[128:129], v[168:169], v[128:129]
	v_add_f64 v[130:131], v[162:163], v[174:175]
	v_mul_f64 v[162:163], v[140:141], s[20:21]
	v_fma_f64 v[170:171], v[142:143], s[16:17], -v[164:165]
	v_mul_f64 v[174:175], v[107:108], s[38:39]
	v_add_f64 v[70:71], v[70:71], v[78:79]
	v_add_f64 v[72:73], v[72:73], v[76:77]
	v_fma_f64 v[185:186], v[144:145], s[18:19], v[172:173]
	v_add_f64 v[128:129], v[160:161], v[128:129]
	v_fma_f64 v[160:161], v[138:139], s[16:17], -v[166:167]
	v_fma_f64 v[187:188], v[148:149], s[18:19], -v[162:163]
	v_add_f64 v[170:171], v[64:65], v[170:171]
	v_fma_f64 v[172:173], v[144:145], s[18:19], -v[172:173]
	v_fma_f64 v[178:179], v[138:139], s[16:17], v[166:167]
	v_add_f64 v[70:71], v[70:71], v[82:83]
	v_add_f64 v[72:73], v[72:73], v[80:81]
	v_fma_f64 v[168:169], v[154:155], s[18:19], v[176:177]
	v_add_f64 v[160:161], v[66:67], v[160:161]
	v_fma_f64 v[191:192], v[103:104], s[22:23], v[174:175]
	v_add_f64 v[170:171], v[187:188], v[170:171]
	v_mul_f64 v[187:188], v[99:100], s[30:31]
	v_fma_f64 v[174:175], v[103:104], s[22:23], -v[174:175]
	v_fma_f64 v[164:165], v[142:143], s[16:17], v[164:165]
	v_mul_f64 v[132:133], v[132:133], s[34:35]
	v_mul_f64 v[80:81], v[136:137], s[34:35]
	v_add_f64 v[160:161], v[172:173], v[160:161]
	v_add_f64 v[178:179], v[66:67], v[178:179]
	v_mul_f64 v[176:177], v[146:147], s[38:39]
	v_add_f64 v[70:71], v[70:71], v[86:87]
	v_add_f64 v[72:73], v[72:73], v[84:85]
	;; [unrolled: 1-line block ×3, first 2 shown]
	v_fma_f64 v[168:169], v[97:98], s[26:27], v[187:188]
	v_fma_f64 v[162:163], v[148:149], s[18:19], v[162:163]
	v_add_f64 v[164:165], v[64:65], v[164:165]
	v_add_f64 v[160:161], v[174:175], v[160:161]
	v_fma_f64 v[174:175], v[97:98], s[26:27], -v[187:188]
	v_mul_f64 v[134:135], v[134:135], s[10:11]
	v_fma_f64 v[187:188], v[138:139], s[26:27], v[132:133]
	v_fma_f64 v[132:133], v[138:139], s[26:27], -v[132:133]
	v_mul_f64 v[136:137], v[140:141], s[10:11]
	v_fma_f64 v[84:85], v[142:143], s[26:27], v[80:81]
	v_fma_f64 v[80:81], v[142:143], s[26:27], -v[80:81]
	v_mul_f64 v[189:190], v[105:106], s[36:37]
	v_add_f64 v[178:179], v[185:186], v[178:179]
	v_fma_f64 v[185:186], v[152:153], s[22:23], -v[176:177]
	v_add_f64 v[70:71], v[70:71], v[90:91]
	v_add_f64 v[72:73], v[72:73], v[88:89]
	;; [unrolled: 1-line block ×3, first 2 shown]
	v_mul_f64 v[107:108], v[107:108], s[8:9]
	v_fma_f64 v[74:75], v[144:145], s[16:17], v[134:135]
	v_add_f64 v[164:165], v[66:67], v[187:188]
	v_mul_f64 v[86:87], v[146:147], s[8:9]
	v_fma_f64 v[134:135], v[144:145], s[16:17], -v[134:135]
	v_add_f64 v[66:67], v[66:67], v[132:133]
	v_fma_f64 v[132:133], v[148:149], s[16:17], v[136:137]
	v_add_f64 v[84:85], v[64:65], v[84:85]
	v_fma_f64 v[88:89], v[148:149], s[16:17], -v[136:137]
	v_add_f64 v[64:65], v[64:65], v[80:81]
	v_mul_f64 v[166:167], v[150:151], s[36:37]
	v_add_f64 v[170:171], v[185:186], v[170:171]
	v_fma_f64 v[185:186], v[101:102], s[28:29], -v[189:190]
	v_fma_f64 v[176:177], v[152:153], s[22:23], v[176:177]
	v_add_f64 v[2:3], v[70:71], v[2:3]
	v_add_f64 v[0:1], v[72:73], v[0:1]
	v_mul_f64 v[105:106], v[105:106], s[20:21]
	v_fma_f64 v[76:77], v[103:104], s[28:29], v[107:108]
	v_add_f64 v[74:75], v[74:75], v[164:165]
	v_mul_f64 v[82:83], v[150:151], s[20:21]
	v_fma_f64 v[80:81], v[103:104], s[28:29], -v[107:108]
	v_add_f64 v[66:67], v[134:135], v[66:67]
	v_fma_f64 v[90:91], v[152:153], s[28:29], v[86:87]
	v_add_f64 v[70:71], v[132:133], v[84:85]
	v_fma_f64 v[72:73], v[152:153], s[28:29], -v[86:87]
	v_add_f64 v[64:65], v[88:89], v[64:65]
	v_fma_f64 v[195:196], v[158:159], s[28:29], -v[166:167]
	v_add_f64 v[160:161], v[185:186], v[160:161]
	v_fma_f64 v[166:167], v[158:159], s[28:29], v[166:167]
	v_add_f64 v[162:163], v[176:177], v[162:163]
	v_add_f64 v[2:3], v[2:3], v[6:7]
	;; [unrolled: 1-line block ×3, first 2 shown]
	v_mul_f64 v[99:100], v[99:100], s[24:25]
	v_add_f64 v[74:75], v[76:77], v[74:75]
	v_mul_f64 v[76:77], v[156:157], s[24:25]
	v_fma_f64 v[84:85], v[101:102], s[18:19], -v[105:106]
	v_add_f64 v[66:67], v[80:81], v[66:67]
	v_fma_f64 v[80:81], v[158:159], s[18:19], v[82:83]
	v_add_f64 v[4:5], v[90:91], v[70:71]
	v_add_f64 v[178:179], v[191:192], v[178:179]
	v_mul_f64 v[191:192], v[156:157], s[30:31]
	v_fma_f64 v[6:7], v[158:159], s[18:19], -v[82:83]
	v_add_f64 v[64:65], v[72:73], v[64:65]
	v_fma_f64 v[193:194], v[101:102], s[28:29], v[189:190]
	v_add_f64 v[68:69], v[174:175], v[160:161]
	v_add_f64 v[160:161], v[166:167], v[162:163]
	v_fma_f64 v[162:163], v[101:102], s[18:19], v[105:106]
	v_add_f64 v[10:11], v[2:3], v[10:11]
	v_add_f64 v[0:1], v[0:1], v[8:9]
	v_fma_f64 v[70:71], v[97:98], s[22:23], -v[99:100]
	v_add_f64 v[66:67], v[84:85], v[66:67]
	v_fma_f64 v[72:73], v[154:155], s[22:23], v[76:77]
	v_add_f64 v[8:9], v[80:81], v[4:5]
	v_fma_f64 v[78:79], v[154:155], s[26:27], v[191:192]
	v_fma_f64 v[76:77], v[154:155], s[22:23], -v[76:77]
	v_add_f64 v[64:65], v[6:7], v[64:65]
	v_add_f64 v[172:173], v[193:194], v[178:179]
	v_fma_f64 v[178:179], v[154:155], s[26:27], -v[191:192]
	v_add_f64 v[170:171], v[195:196], v[170:171]
	v_fma_f64 v[80:81], v[97:98], s[22:23], v[99:100]
	v_add_f64 v[74:75], v[162:163], v[74:75]
	v_add_f64 v[6:7], v[10:11], v[14:15]
	;; [unrolled: 1-line block ×7, first 2 shown]
	v_lshl_add_u32 v64, v184, 4, v183
	v_add_f64 v[10:11], v[168:169], v[172:173]
	v_add_f64 v[8:9], v[178:179], v[170:171]
	;; [unrolled: 1-line block ×3, first 2 shown]
	ds_write_b128 v64, v[4:7]
	ds_write_b128 v64, v[0:3] offset:16
	ds_write_b128 v64, v[66:69] offset:32
	;; [unrolled: 1-line block ×10, first 2 shown]
.LBB0_13:
	s_or_b64 exec, exec, s[2:3]
	s_waitcnt lgkmcnt(0)
	s_barrier
	ds_read_b128 v[0:3], v110 offset:1232
	ds_read_b128 v[4:7], v110 offset:2464
	;; [unrolled: 1-line block ×3, first 2 shown]
	ds_read_b128 v[12:15], v110
	ds_read_b128 v[64:67], v110 offset:4928
	ds_read_b128 v[68:71], v110 offset:6160
	;; [unrolled: 1-line block ×3, first 2 shown]
	s_mov_b32 s8, 0x37e14327
	s_waitcnt lgkmcnt(6)
	v_mul_f64 v[76:77], v[30:31], v[2:3]
	v_mul_f64 v[30:31], v[30:31], v[0:1]
	s_waitcnt lgkmcnt(5)
	v_mul_f64 v[78:79], v[26:27], v[6:7]
	v_mul_f64 v[26:27], v[26:27], v[4:5]
	s_mov_b32 s2, 0x36b3c0b5
	s_mov_b32 s16, 0xe976ee23
	;; [unrolled: 1-line block ×4, first 2 shown]
	v_fma_f64 v[0:1], v[28:29], v[0:1], v[76:77]
	v_fma_f64 v[2:3], v[28:29], v[2:3], -v[30:31]
	v_fma_f64 v[4:5], v[24:25], v[4:5], v[78:79]
	v_fma_f64 v[6:7], v[24:25], v[6:7], -v[26:27]
	s_waitcnt lgkmcnt(0)
	v_mul_f64 v[24:25], v[34:35], v[74:75]
	v_mul_f64 v[26:27], v[34:35], v[72:73]
	;; [unrolled: 1-line block ×8, first 2 shown]
	v_fma_f64 v[24:25], v[32:33], v[72:73], v[24:25]
	v_fma_f64 v[26:27], v[32:33], v[74:75], -v[26:27]
	v_fma_f64 v[8:9], v[20:21], v[8:9], v[28:29]
	v_fma_f64 v[10:11], v[20:21], v[10:11], -v[22:23]
	;; [unrolled: 2-line block ×4, first 2 shown]
	v_add_f64 v[18:19], v[0:1], v[24:25]
	v_add_f64 v[30:31], v[2:3], v[26:27]
	v_add_f64 v[0:1], v[0:1], -v[24:25]
	v_add_f64 v[2:3], v[2:3], -v[26:27]
	v_add_f64 v[24:25], v[4:5], v[20:21]
	v_add_f64 v[26:27], v[6:7], v[22:23]
	v_add_f64 v[4:5], v[4:5], -v[20:21]
	v_add_f64 v[6:7], v[6:7], -v[22:23]
	;; [unrolled: 4-line block ×4, first 2 shown]
	v_add_f64 v[18:19], v[18:19], -v[20:21]
	v_add_f64 v[30:31], v[30:31], -v[22:23]
	;; [unrolled: 1-line block ×4, first 2 shown]
	v_add_f64 v[36:37], v[8:9], v[4:5]
	v_add_f64 v[38:39], v[10:11], v[6:7]
	v_add_f64 v[64:65], v[8:9], -v[4:5]
	v_add_f64 v[66:67], v[10:11], -v[6:7]
	v_add_f64 v[16:17], v[20:21], v[16:17]
	v_add_f64 v[20:21], v[22:23], v[28:29]
	v_add_f64 v[4:5], v[4:5], -v[0:1]
	v_add_f64 v[6:7], v[6:7], -v[2:3]
	s_mov_b32 s17, 0x3fe11646
	s_mov_b32 s10, 0x429ad128
	v_add_f64 v[8:9], v[0:1], -v[8:9]
	v_add_f64 v[10:11], v[2:3], -v[10:11]
	v_add_f64 v[22:23], v[36:37], v[0:1]
	v_add_f64 v[28:29], v[38:39], v[2:3]
	;; [unrolled: 1-line block ×4, first 2 shown]
	v_mul_f64 v[12:13], v[18:19], s[8:9]
	v_mul_f64 v[14:15], v[30:31], s[8:9]
	;; [unrolled: 1-line block ×6, first 2 shown]
	s_mov_b32 s11, 0xbfebfeb5
	v_mul_f64 v[64:65], v[4:5], s[10:11]
	v_mul_f64 v[66:67], v[6:7], s[10:11]
	s_mov_b32 s18, 0xaaaaaaaa
	s_mov_b32 s20, 0x5476071b
	;; [unrolled: 1-line block ×8, first 2 shown]
	v_fma_f64 v[16:17], v[16:17], s[18:19], v[0:1]
	v_fma_f64 v[20:21], v[20:21], s[18:19], v[2:3]
	;; [unrolled: 1-line block ×4, first 2 shown]
	v_fma_f64 v[18:19], v[32:33], s[20:21], -v[18:19]
	v_fma_f64 v[30:31], v[34:35], s[20:21], -v[30:31]
	;; [unrolled: 1-line block ×4, first 2 shown]
	v_fma_f64 v[32:33], v[8:9], s[24:25], v[36:37]
	v_fma_f64 v[34:35], v[10:11], s[24:25], v[38:39]
	s_mov_b32 s29, 0x3fd5d0dc
	s_mov_b32 s28, s24
	v_fma_f64 v[8:9], v[8:9], s[28:29], -v[64:65]
	v_fma_f64 v[10:11], v[10:11], s[28:29], -v[66:67]
	;; [unrolled: 1-line block ×4, first 2 shown]
	s_mov_b32 s26, 0x37c3f68c
	s_mov_b32 s27, 0xbfdc38aa
	v_add_f64 v[24:25], v[24:25], v[16:17]
	v_add_f64 v[26:27], v[26:27], v[20:21]
	v_fma_f64 v[34:35], v[28:29], s[26:27], v[34:35]
	v_fma_f64 v[32:33], v[22:23], s[26:27], v[32:33]
	v_add_f64 v[30:31], v[30:31], v[20:21]
	v_add_f64 v[36:37], v[12:13], v[16:17]
	;; [unrolled: 1-line block ×3, first 2 shown]
	v_fma_f64 v[20:21], v[28:29], s[26:27], v[10:11]
	v_fma_f64 v[64:65], v[22:23], s[26:27], v[8:9]
	v_add_f64 v[18:19], v[18:19], v[16:17]
	v_fma_f64 v[16:17], v[28:29], s[26:27], v[6:7]
	v_fma_f64 v[22:23], v[22:23], s[26:27], v[4:5]
	v_add_f64 v[4:5], v[34:35], v[24:25]
	v_add_f64 v[6:7], v[26:27], -v[32:33]
	v_add_f64 v[24:25], v[24:25], -v[34:35]
	v_add_f64 v[8:9], v[20:21], v[36:37]
	v_add_f64 v[10:11], v[38:39], -v[64:65]
	v_add_f64 v[20:21], v[36:37], -v[20:21]
	;; [unrolled: 1-line block ×3, first 2 shown]
	v_add_f64 v[14:15], v[22:23], v[30:31]
	v_add_f64 v[16:17], v[16:17], v[18:19]
	v_add_f64 v[18:19], v[30:31], -v[22:23]
	v_add_f64 v[22:23], v[64:65], v[38:39]
	v_add_f64 v[26:27], v[32:33], v[26:27]
	s_barrier
	ds_write_b128 v111, v[0:3]
	ds_write_b128 v111, v[4:7] offset:176
	ds_write_b128 v111, v[8:11] offset:352
	ds_write_b128 v111, v[12:15] offset:528
	ds_write_b128 v111, v[16:19] offset:704
	ds_write_b128 v111, v[20:23] offset:880
	ds_write_b128 v111, v[24:27] offset:1056
	s_waitcnt lgkmcnt(0)
	s_barrier
	ds_read_b128 v[0:3], v110 offset:1232
	ds_read_b128 v[4:7], v110 offset:2464
	;; [unrolled: 1-line block ×3, first 2 shown]
	ds_read_b128 v[12:15], v110
	ds_read_b128 v[16:19], v110 offset:4928
	ds_read_b128 v[20:23], v110 offset:6160
	;; [unrolled: 1-line block ×3, first 2 shown]
	s_waitcnt lgkmcnt(6)
	v_mul_f64 v[28:29], v[54:55], v[2:3]
	v_mul_f64 v[30:31], v[54:55], v[0:1]
	s_waitcnt lgkmcnt(5)
	v_mul_f64 v[32:33], v[50:51], v[6:7]
	v_mul_f64 v[34:35], v[50:51], v[4:5]
	;; [unrolled: 3-line block ×3, first 2 shown]
	v_fma_f64 v[0:1], v[52:53], v[0:1], v[28:29]
	v_fma_f64 v[2:3], v[52:53], v[2:3], -v[30:31]
	s_waitcnt lgkmcnt(0)
	v_mul_f64 v[28:29], v[58:59], v[26:27]
	v_mul_f64 v[30:31], v[58:59], v[24:25]
	v_fma_f64 v[4:5], v[48:49], v[4:5], v[32:33]
	v_fma_f64 v[6:7], v[48:49], v[6:7], -v[34:35]
	v_mul_f64 v[32:33], v[46:47], v[10:11]
	v_mul_f64 v[34:35], v[46:47], v[8:9]
	;; [unrolled: 1-line block ×4, first 2 shown]
	v_fma_f64 v[24:25], v[56:57], v[24:25], v[28:29]
	v_fma_f64 v[26:27], v[56:57], v[26:27], -v[30:31]
	v_fma_f64 v[20:21], v[60:61], v[20:21], v[36:37]
	v_fma_f64 v[22:23], v[60:61], v[22:23], -v[38:39]
	;; [unrolled: 2-line block ×4, first 2 shown]
	v_add_f64 v[28:29], v[0:1], v[24:25]
	v_add_f64 v[30:31], v[2:3], v[26:27]
	v_add_f64 v[0:1], v[0:1], -v[24:25]
	v_add_f64 v[2:3], v[2:3], -v[26:27]
	v_add_f64 v[24:25], v[4:5], v[20:21]
	v_add_f64 v[26:27], v[6:7], v[22:23]
	v_add_f64 v[4:5], v[4:5], -v[20:21]
	v_add_f64 v[6:7], v[6:7], -v[22:23]
	;; [unrolled: 4-line block ×4, first 2 shown]
	v_add_f64 v[28:29], v[28:29], -v[20:21]
	v_add_f64 v[30:31], v[30:31], -v[22:23]
	;; [unrolled: 1-line block ×4, first 2 shown]
	v_add_f64 v[36:37], v[8:9], v[4:5]
	v_add_f64 v[38:39], v[10:11], v[6:7]
	v_add_f64 v[40:41], v[8:9], -v[4:5]
	v_add_f64 v[42:43], v[10:11], -v[6:7]
	v_add_f64 v[16:17], v[20:21], v[16:17]
	v_add_f64 v[18:19], v[22:23], v[18:19]
	v_add_f64 v[4:5], v[4:5], -v[0:1]
	v_add_f64 v[6:7], v[6:7], -v[2:3]
	;; [unrolled: 1-line block ×4, first 2 shown]
	v_add_f64 v[20:21], v[36:37], v[0:1]
	v_add_f64 v[22:23], v[38:39], v[2:3]
	;; [unrolled: 1-line block ×4, first 2 shown]
	v_mul_f64 v[12:13], v[28:29], s[8:9]
	v_mul_f64 v[14:15], v[30:31], s[8:9]
	;; [unrolled: 1-line block ×8, first 2 shown]
	v_fma_f64 v[16:17], v[16:17], s[18:19], v[0:1]
	v_fma_f64 v[18:19], v[18:19], s[18:19], v[2:3]
	;; [unrolled: 1-line block ×4, first 2 shown]
	v_fma_f64 v[28:29], v[32:33], s[20:21], -v[28:29]
	v_fma_f64 v[30:31], v[34:35], s[20:21], -v[30:31]
	;; [unrolled: 1-line block ×4, first 2 shown]
	v_fma_f64 v[32:33], v[8:9], s[24:25], v[36:37]
	v_fma_f64 v[34:35], v[10:11], s[24:25], v[38:39]
	v_fma_f64 v[8:9], v[8:9], s[28:29], -v[40:41]
	v_fma_f64 v[10:11], v[10:11], s[28:29], -v[42:43]
	;; [unrolled: 1-line block ×4, first 2 shown]
	v_add_f64 v[24:25], v[24:25], v[16:17]
	v_add_f64 v[26:27], v[26:27], v[18:19]
	v_fma_f64 v[32:33], v[20:21], s[26:27], v[32:33]
	v_fma_f64 v[34:35], v[22:23], s[26:27], v[34:35]
	v_add_f64 v[36:37], v[12:13], v[16:17]
	v_add_f64 v[38:39], v[14:15], v[18:19]
	v_fma_f64 v[40:41], v[22:23], s[26:27], v[10:11]
	v_fma_f64 v[42:43], v[20:21], s[26:27], v[8:9]
	;; [unrolled: 4-line block ×3, first 2 shown]
	v_add_f64 v[4:5], v[34:35], v[24:25]
	v_add_f64 v[6:7], v[26:27], -v[32:33]
	v_add_f64 v[8:9], v[40:41], v[36:37]
	v_add_f64 v[10:11], v[38:39], -v[42:43]
	v_add_f64 v[20:21], v[36:37], -v[40:41]
	v_add_f64 v[22:23], v[42:43], v[38:39]
	v_add_f64 v[12:13], v[28:29], -v[16:17]
	v_add_f64 v[14:15], v[18:19], v[30:31]
	v_add_f64 v[16:17], v[16:17], v[28:29]
	v_add_f64 v[18:19], v[30:31], -v[18:19]
	v_add_f64 v[24:25], v[24:25], -v[34:35]
	v_add_f64 v[26:27], v[32:33], v[26:27]
	ds_write_b128 v109, v[0:3]
	ds_write_b128 v109, v[4:7] offset:1232
	ds_write_b128 v109, v[8:11] offset:2464
	;; [unrolled: 1-line block ×6, first 2 shown]
	s_waitcnt lgkmcnt(0)
	s_barrier
	s_and_b64 exec, exec, s[0:1]
	s_cbranch_execz .LBB0_15
; %bb.14:
	global_load_dwordx4 v[0:3], v182, s[14:15]
	global_load_dwordx4 v[4:7], v182, s[14:15] offset:784
	global_load_dwordx4 v[8:11], v182, s[14:15] offset:1568
	global_load_dwordx4 v[12:15], v182, s[14:15] offset:2352
	global_load_dwordx4 v[16:19], v182, s[14:15] offset:3136
	ds_read_b128 v[20:23], v109
	ds_read_b128 v[24:27], v109 offset:784
	global_load_dwordx4 v[28:31], v182, s[14:15] offset:3920
	v_mov_b32_e32 v48, s15
	v_mad_u64_u32 v[70:71], s[2:3], s4, v181, 0
	v_add_co_u32_e32 v49, vcc, s14, v182
	v_mad_u64_u32 v[68:69], s[0:1], s6, v96, 0
	s_mul_hi_u32 s6, s4, 0x310
	s_mul_i32 s2, s4, 0x310
	s_movk_i32 s4, 0x1000
	v_addc_co_u32_e32 v48, vcc, 0, v48, vcc
	v_add_co_u32_e32 v72, vcc, s4, v49
	v_addc_co_u32_e32 v73, vcc, 0, v48, vcc
	ds_read_b128 v[32:35], v109 offset:1568
	ds_read_b128 v[36:39], v109 offset:2352
	;; [unrolled: 1-line block ×4, first 2 shown]
	global_load_dwordx4 v[48:51], v[72:73], off offset:608
	global_load_dwordx4 v[52:55], v[72:73], off offset:1392
	s_mul_i32 s3, s5, 0x310
	v_mov_b32_e32 v56, v69
	v_mov_b32_e32 v57, v71
	s_add_i32 s3, s6, s3
	v_mad_u64_u32 v[74:75], s[6:7], s7, v96, v[56:57]
	v_mad_u64_u32 v[75:76], s[4:5], s5, v181, v[57:58]
	global_load_dwordx4 v[56:59], v[72:73], off offset:2176
	global_load_dwordx4 v[60:63], v[72:73], off offset:2960
	;; [unrolled: 1-line block ×3, first 2 shown]
	v_mov_b32_e32 v69, v74
	v_lshlrev_b64 v[68:69], 4, v[68:69]
	v_mov_b32_e32 v71, v75
	v_mov_b32_e32 v77, s13
	v_lshlrev_b64 v[70:71], 4, v[70:71]
	v_add_co_u32_e32 v68, vcc, s12, v68
	v_addc_co_u32_e32 v69, vcc, v77, v69, vcc
	v_add_co_u32_e32 v68, vcc, v68, v70
	v_addc_co_u32_e32 v69, vcc, v69, v71, vcc
	v_mov_b32_e32 v78, s3
	v_add_co_u32_e32 v70, vcc, s2, v68
	v_addc_co_u32_e32 v71, vcc, v69, v78, vcc
	v_mov_b32_e32 v79, s3
	;; [unrolled: 3-line block ×3, first 2 shown]
	v_add_co_u32_e32 v74, vcc, s2, v72
	v_addc_co_u32_e32 v75, vcc, v73, v80, vcc
	s_mov_b32 s0, 0xdbe74d6b
	s_mov_b32 s1, 0x3f5e65a3
	s_waitcnt vmcnt(10) lgkmcnt(5)
	v_mul_f64 v[76:77], v[22:23], v[2:3]
	v_mul_f64 v[2:3], v[20:21], v[2:3]
	s_waitcnt vmcnt(9) lgkmcnt(4)
	v_mul_f64 v[78:79], v[26:27], v[6:7]
	v_mul_f64 v[6:7], v[24:25], v[6:7]
	s_waitcnt vmcnt(8) lgkmcnt(3)
	v_mul_f64 v[80:81], v[34:35], v[10:11]
	v_mul_f64 v[10:11], v[32:33], v[10:11]
	s_waitcnt vmcnt(7) lgkmcnt(2)
	v_mul_f64 v[82:83], v[38:39], v[14:15]
	v_mul_f64 v[14:15], v[36:37], v[14:15]
	v_fma_f64 v[20:21], v[20:21], v[0:1], v[76:77]
	v_fma_f64 v[2:3], v[0:1], v[22:23], -v[2:3]
	v_fma_f64 v[22:23], v[24:25], v[4:5], v[78:79]
	v_fma_f64 v[6:7], v[4:5], v[26:27], -v[6:7]
	;; [unrolled: 2-line block ×4, first 2 shown]
	s_waitcnt vmcnt(6) lgkmcnt(1)
	v_mul_f64 v[84:85], v[42:43], v[18:19]
	v_mul_f64 v[18:19], v[40:41], v[18:19]
	;; [unrolled: 1-line block ×10, first 2 shown]
	v_fma_f64 v[20:21], v[40:41], v[16:17], v[84:85]
	v_fma_f64 v[16:17], v[16:17], v[42:43], -v[18:19]
	s_waitcnt vmcnt(5) lgkmcnt(0)
	v_mul_f64 v[18:19], v[46:47], v[30:31]
	v_mul_f64 v[22:23], v[44:45], v[30:31]
	global_store_dwordx4 v[68:69], v[0:3], off
	global_store_dwordx4 v[70:71], v[4:7], off
	;; [unrolled: 1-line block ×4, first 2 shown]
	ds_read_b128 v[4:7], v109 offset:4704
	ds_read_b128 v[8:11], v109 offset:5488
	v_mul_f64 v[0:1], v[20:21], s[0:1]
	v_mul_f64 v[2:3], v[16:17], s[0:1]
	v_fma_f64 v[12:13], v[44:45], v[28:29], v[18:19]
	v_fma_f64 v[14:15], v[28:29], v[46:47], -v[22:23]
	s_waitcnt vmcnt(8) lgkmcnt(1)
	v_mul_f64 v[16:17], v[6:7], v[50:51]
	v_mul_f64 v[18:19], v[4:5], v[50:51]
	v_mov_b32_e32 v21, s3
	v_add_co_u32_e32 v20, vcc, s2, v74
	v_addc_co_u32_e32 v21, vcc, v75, v21, vcc
	global_store_dwordx4 v[20:21], v[0:3], off
	v_fma_f64 v[4:5], v[4:5], v[48:49], v[16:17]
	v_mul_f64 v[0:1], v[12:13], s[0:1]
	v_mul_f64 v[2:3], v[14:15], s[0:1]
	v_fma_f64 v[6:7], v[48:49], v[6:7], -v[18:19]
	s_waitcnt vmcnt(8) lgkmcnt(0)
	v_mul_f64 v[12:13], v[10:11], v[54:55]
	v_mul_f64 v[14:15], v[8:9], v[54:55]
	v_mov_b32_e32 v22, s3
	v_add_co_u32_e32 v16, vcc, s2, v20
	v_addc_co_u32_e32 v17, vcc, v21, v22, vcc
	global_store_dwordx4 v[16:17], v[0:3], off
	v_fma_f64 v[12:13], v[8:9], v[52:53], v[12:13]
	v_mul_f64 v[0:1], v[4:5], s[0:1]
	v_mul_f64 v[2:3], v[6:7], s[0:1]
	ds_read_b128 v[4:7], v109 offset:6272
	v_fma_f64 v[14:15], v[52:53], v[10:11], -v[14:15]
	ds_read_b128 v[8:11], v109 offset:7056
	v_add_co_u32_e32 v16, vcc, s2, v16
	s_waitcnt vmcnt(8) lgkmcnt(1)
	v_mul_f64 v[18:19], v[6:7], v[58:59]
	v_mul_f64 v[20:21], v[4:5], v[58:59]
	v_addc_co_u32_e32 v17, vcc, v17, v22, vcc
	global_store_dwordx4 v[16:17], v[0:3], off
	v_add_co_u32_e32 v16, vcc, s2, v16
	v_mul_f64 v[0:1], v[12:13], s[0:1]
	v_mul_f64 v[2:3], v[14:15], s[0:1]
	v_fma_f64 v[12:13], v[4:5], v[56:57], v[18:19]
	v_fma_f64 v[14:15], v[56:57], v[6:7], -v[20:21]
	ds_read_b128 v[4:7], v109 offset:7840
	s_waitcnt vmcnt(8) lgkmcnt(1)
	v_mul_f64 v[18:19], v[10:11], v[62:63]
	v_mul_f64 v[20:21], v[8:9], v[62:63]
	v_addc_co_u32_e32 v17, vcc, v17, v22, vcc
	s_waitcnt vmcnt(7) lgkmcnt(0)
	v_mul_f64 v[22:23], v[6:7], v[66:67]
	v_mul_f64 v[24:25], v[4:5], v[66:67]
	global_store_dwordx4 v[16:17], v[0:3], off
	v_fma_f64 v[8:9], v[8:9], v[60:61], v[18:19]
	v_mul_f64 v[0:1], v[12:13], s[0:1]
	v_mul_f64 v[2:3], v[14:15], s[0:1]
	v_fma_f64 v[10:11], v[60:61], v[10:11], -v[20:21]
	v_fma_f64 v[4:5], v[4:5], v[64:65], v[22:23]
	v_fma_f64 v[6:7], v[64:65], v[6:7], -v[24:25]
	v_mov_b32_e32 v13, s3
	v_add_co_u32_e32 v12, vcc, s2, v16
	v_addc_co_u32_e32 v13, vcc, v17, v13, vcc
	global_store_dwordx4 v[12:13], v[0:3], off
	v_mul_f64 v[4:5], v[4:5], s[0:1]
	v_mul_f64 v[0:1], v[8:9], s[0:1]
	;; [unrolled: 1-line block ×4, first 2 shown]
	v_mov_b32_e32 v9, s3
	v_add_co_u32_e32 v8, vcc, s2, v12
	v_addc_co_u32_e32 v9, vcc, v13, v9, vcc
	global_store_dwordx4 v[8:9], v[0:3], off
	s_nop 0
	v_mov_b32_e32 v1, s3
	v_add_co_u32_e32 v0, vcc, s2, v8
	v_addc_co_u32_e32 v1, vcc, v9, v1, vcc
	global_store_dwordx4 v[0:1], v[4:7], off
.LBB0_15:
	s_endpgm
	.section	.rodata,"a",@progbits
	.p2align	6, 0x0
	.amdhsa_kernel bluestein_single_back_len539_dim1_dp_op_CI_CI
		.amdhsa_group_segment_fixed_size 25872
		.amdhsa_private_segment_fixed_size 0
		.amdhsa_kernarg_size 104
		.amdhsa_user_sgpr_count 6
		.amdhsa_user_sgpr_private_segment_buffer 1
		.amdhsa_user_sgpr_dispatch_ptr 0
		.amdhsa_user_sgpr_queue_ptr 0
		.amdhsa_user_sgpr_kernarg_segment_ptr 1
		.amdhsa_user_sgpr_dispatch_id 0
		.amdhsa_user_sgpr_flat_scratch_init 0
		.amdhsa_user_sgpr_private_segment_size 0
		.amdhsa_uses_dynamic_stack 0
		.amdhsa_system_sgpr_private_segment_wavefront_offset 0
		.amdhsa_system_sgpr_workgroup_id_x 1
		.amdhsa_system_sgpr_workgroup_id_y 0
		.amdhsa_system_sgpr_workgroup_id_z 0
		.amdhsa_system_sgpr_workgroup_info 0
		.amdhsa_system_vgpr_workitem_id 0
		.amdhsa_next_free_vgpr 250
		.amdhsa_next_free_sgpr 42
		.amdhsa_reserve_vcc 1
		.amdhsa_reserve_flat_scratch 0
		.amdhsa_float_round_mode_32 0
		.amdhsa_float_round_mode_16_64 0
		.amdhsa_float_denorm_mode_32 3
		.amdhsa_float_denorm_mode_16_64 3
		.amdhsa_dx10_clamp 1
		.amdhsa_ieee_mode 1
		.amdhsa_fp16_overflow 0
		.amdhsa_exception_fp_ieee_invalid_op 0
		.amdhsa_exception_fp_denorm_src 0
		.amdhsa_exception_fp_ieee_div_zero 0
		.amdhsa_exception_fp_ieee_overflow 0
		.amdhsa_exception_fp_ieee_underflow 0
		.amdhsa_exception_fp_ieee_inexact 0
		.amdhsa_exception_int_div_zero 0
	.end_amdhsa_kernel
	.text
.Lfunc_end0:
	.size	bluestein_single_back_len539_dim1_dp_op_CI_CI, .Lfunc_end0-bluestein_single_back_len539_dim1_dp_op_CI_CI
                                        ; -- End function
	.section	.AMDGPU.csdata,"",@progbits
; Kernel info:
; codeLenInByte = 13240
; NumSgprs: 46
; NumVgprs: 250
; ScratchSize: 0
; MemoryBound: 0
; FloatMode: 240
; IeeeMode: 1
; LDSByteSize: 25872 bytes/workgroup (compile time only)
; SGPRBlocks: 5
; VGPRBlocks: 62
; NumSGPRsForWavesPerEU: 46
; NumVGPRsForWavesPerEU: 250
; Occupancy: 1
; WaveLimiterHint : 1
; COMPUTE_PGM_RSRC2:SCRATCH_EN: 0
; COMPUTE_PGM_RSRC2:USER_SGPR: 6
; COMPUTE_PGM_RSRC2:TRAP_HANDLER: 0
; COMPUTE_PGM_RSRC2:TGID_X_EN: 1
; COMPUTE_PGM_RSRC2:TGID_Y_EN: 0
; COMPUTE_PGM_RSRC2:TGID_Z_EN: 0
; COMPUTE_PGM_RSRC2:TIDIG_COMP_CNT: 0
	.type	__hip_cuid_1a1fac69fe9bb09e,@object ; @__hip_cuid_1a1fac69fe9bb09e
	.section	.bss,"aw",@nobits
	.globl	__hip_cuid_1a1fac69fe9bb09e
__hip_cuid_1a1fac69fe9bb09e:
	.byte	0                               ; 0x0
	.size	__hip_cuid_1a1fac69fe9bb09e, 1

	.ident	"AMD clang version 19.0.0git (https://github.com/RadeonOpenCompute/llvm-project roc-6.4.0 25133 c7fe45cf4b819c5991fe208aaa96edf142730f1d)"
	.section	".note.GNU-stack","",@progbits
	.addrsig
	.addrsig_sym __hip_cuid_1a1fac69fe9bb09e
	.amdgpu_metadata
---
amdhsa.kernels:
  - .args:
      - .actual_access:  read_only
        .address_space:  global
        .offset:         0
        .size:           8
        .value_kind:     global_buffer
      - .actual_access:  read_only
        .address_space:  global
        .offset:         8
        .size:           8
        .value_kind:     global_buffer
      - .actual_access:  read_only
        .address_space:  global
        .offset:         16
        .size:           8
        .value_kind:     global_buffer
      - .actual_access:  read_only
        .address_space:  global
        .offset:         24
        .size:           8
        .value_kind:     global_buffer
      - .actual_access:  read_only
        .address_space:  global
        .offset:         32
        .size:           8
        .value_kind:     global_buffer
      - .offset:         40
        .size:           8
        .value_kind:     by_value
      - .address_space:  global
        .offset:         48
        .size:           8
        .value_kind:     global_buffer
      - .address_space:  global
        .offset:         56
        .size:           8
        .value_kind:     global_buffer
      - .address_space:  global
        .offset:         64
        .size:           8
        .value_kind:     global_buffer
      - .address_space:  global
        .offset:         72
        .size:           8
        .value_kind:     global_buffer
      - .offset:         80
        .size:           4
        .value_kind:     by_value
      - .address_space:  global
        .offset:         88
        .size:           8
        .value_kind:     global_buffer
      - .address_space:  global
        .offset:         96
        .size:           8
        .value_kind:     global_buffer
    .group_segment_fixed_size: 25872
    .kernarg_segment_align: 8
    .kernarg_segment_size: 104
    .language:       OpenCL C
    .language_version:
      - 2
      - 0
    .max_flat_workgroup_size: 231
    .name:           bluestein_single_back_len539_dim1_dp_op_CI_CI
    .private_segment_fixed_size: 0
    .sgpr_count:     46
    .sgpr_spill_count: 0
    .symbol:         bluestein_single_back_len539_dim1_dp_op_CI_CI.kd
    .uniform_work_group_size: 1
    .uses_dynamic_stack: false
    .vgpr_count:     250
    .vgpr_spill_count: 0
    .wavefront_size: 64
amdhsa.target:   amdgcn-amd-amdhsa--gfx906
amdhsa.version:
  - 1
  - 2
...

	.end_amdgpu_metadata
